;; amdgpu-corpus repo=ROCm/hipCUB kind=compiled arch=gfx90a opt=O3
	.text
	.amdgcn_target "amdgcn-amd-amdhsa--gfx90a"
	.amdhsa_code_object_version 6
	.section	.text._Z15sort_key_kernelILj255ELj1ELb1ELb0EN10test_utils16custom_test_typeIhEEEvPT3_jj,"axG",@progbits,_Z15sort_key_kernelILj255ELj1ELb1ELb0EN10test_utils16custom_test_typeIhEEEvPT3_jj,comdat
	.protected	_Z15sort_key_kernelILj255ELj1ELb1ELb0EN10test_utils16custom_test_typeIhEEEvPT3_jj ; -- Begin function _Z15sort_key_kernelILj255ELj1ELb1ELb0EN10test_utils16custom_test_typeIhEEEvPT3_jj
	.globl	_Z15sort_key_kernelILj255ELj1ELb1ELb0EN10test_utils16custom_test_typeIhEEEvPT3_jj
	.p2align	8
	.type	_Z15sort_key_kernelILj255ELj1ELb1ELb0EN10test_utils16custom_test_typeIhEEEvPT3_jj,@function
_Z15sort_key_kernelILj255ELj1ELb1ELb0EN10test_utils16custom_test_typeIhEEEvPT3_jj: ; @_Z15sort_key_kernelILj255ELj1ELb1ELb0EN10test_utils16custom_test_typeIhEEEvPT3_jj
; %bb.0:
	s_load_dwordx4 s[24:27], s[4:5], 0x0
	s_mul_i32 s0, s6, 0xff
	s_mov_b32 s1, 0
	s_lshl_b64 s[0:1], s[0:1], 1
	v_lshlrev_b32_e32 v11, 1, v0
	s_waitcnt lgkmcnt(0)
	s_add_u32 s28, s24, s0
	s_addc_u32 s29, s25, s1
	global_load_ushort v18, v11, s[28:29]
	s_cmp_lg_u32 s26, 0
	s_cselect_b64 s[4:5], -1, 0
	s_cmp_lg_u32 s27, 16
	s_cselect_b64 s[6:7], -1, 0
	s_or_b64 s[4:5], s[4:5], s[6:7]
	v_mbcnt_lo_u32_b32 v17, -1, 0
	v_lshlrev_b32_e32 v13, 5, v0
	v_cmp_gt_u32_e64 s[0:1], 4, v0
	v_cmp_lt_u32_e64 s[2:3], 63, v0
	v_lshrrev_b32_e32 v16, 4, v0
	v_lshlrev_b32_e32 v19, 2, v0
	v_mov_b32_e32 v12, s29
	s_and_b64 vcc, exec, s[4:5]
	s_waitcnt vmcnt(0)
	v_lshrrev_b16_e32 v20, 8, v18
	s_cbranch_vccz .LBB0_22
; %bb.1:
	v_mbcnt_hi_u32_b32 v1, -1, v17
	v_and_b32_e32 v2, 15, v1
	v_cmp_eq_u32_e64 s[4:5], 0, v2
	v_cmp_lt_u32_e64 s[6:7], 1, v2
	v_cmp_lt_u32_e64 s[8:9], 3, v2
	;; [unrolled: 1-line block ×3, first 2 shown]
	v_and_b32_e32 v2, 16, v1
	v_cmp_eq_u32_e64 s[12:13], 0, v2
	v_and_b32_e32 v2, 0xc0, v0
	v_min_u32_e32 v2, 0xbf, v2
	v_add_u32_e32 v2, 63, v2
	v_cmp_eq_u32_e64 s[16:17], v2, v0
	v_add_u32_e32 v2, -1, v1
	v_and_b32_e32 v3, 64, v1
	v_cmp_lt_i32_e32 vcc, v2, v3
	v_cmp_lt_u32_e64 s[14:15], 31, v1
	v_cndmask_b32_e32 v2, v2, v1, vcc
	v_cmp_eq_u32_e64 s[18:19], 0, v1
	v_and_b32_e32 v1, 3, v1
	v_cmp_eq_u32_e64 s[20:21], 0, v1
	v_cmp_lt_u32_e64 s[22:23], 1, v1
	v_sub_u32_e32 v1, 0x6f8, v0
	s_mov_b32 s24, 0x1010102
	v_mul_hi_u32 v1, v1, s24
	v_lshlrev_b32_e32 v15, 2, v2
	v_lshlrev_b32_e32 v22, 2, v0
	v_add_u32_e32 v2, 3, v1
	v_add_u32_e32 v10, 1, v1
	v_and_b32_e32 v21, 12, v16
	v_sub_u32_e32 v14, v22, v11
	v_and_b32_e32 v23, 30, v2
	v_mov_b32_e32 v1, v10
	v_mov_b32_e32 v24, 0
	;; [unrolled: 1-line block ×5, first 2 shown]
	s_branch .LBB0_3
.LBB0_2:                                ;   in Loop: Header=BB0_3 Depth=1
	s_barrier
	ds_write_b16 v2, v5
	s_waitcnt lgkmcnt(0)
	s_barrier
	ds_read_u16 v26, v14
	s_waitcnt lgkmcnt(0)
	s_barrier
	v_lshrrev_b16_e32 v27, 8, v26
	s_cbranch_execz .LBB0_21
.LBB0_3:                                ; =>This Loop Header: Depth=1
                                        ;     Child Loop BB0_5 Depth 2
	s_mov_b32 s29, 0
	s_mov_b64 s[30:31], 0
	v_mov_b32_e32 v2, v22
	s_branch .LBB0_5
.LBB0_4:                                ;   in Loop: Header=BB0_5 Depth=2
	s_or_b64 exec, exec, s[24:25]
	s_add_i32 s29, s29, 2
	v_cmp_eq_u32_e32 vcc, s29, v23
	s_or_b64 s[30:31], vcc, s[30:31]
	v_add_u32_e32 v2, 0x7f8, v2
	s_andn2_b64 exec, exec, s[30:31]
	s_cbranch_execz .LBB0_9
.LBB0_5:                                ;   Parent Loop BB0_3 Depth=1
                                        ; =>  This Inner Loop Header: Depth=2
	s_or_b32 s24, s29, 1
	v_cmp_le_u32_e32 vcc, s24, v1
	v_cmp_le_u32_e64 s[24:25], s29, v10
	s_and_saveexec_b64 s[34:35], s[24:25]
	s_cbranch_execz .LBB0_7
; %bb.6:                                ;   in Loop: Header=BB0_5 Depth=2
	ds_write_b32 v2, v24
.LBB0_7:                                ;   in Loop: Header=BB0_5 Depth=2
	s_or_b64 exec, exec, s[34:35]
	s_and_saveexec_b64 s[24:25], vcc
	s_cbranch_execz .LBB0_4
; %bb.8:                                ;   in Loop: Header=BB0_5 Depth=2
	ds_write_b32 v2, v24 offset:1020
	s_branch .LBB0_4
.LBB0_9:                                ;   in Loop: Header=BB0_3 Depth=1
	s_or_b64 exec, exec, s[30:31]
	s_sub_i32 s24, s27, s26
	s_min_u32 s24, s24, 4
	s_add_i32 s25, s24, s26
	s_cmp_gt_i32 s26, 7
	s_cselect_b64 s[30:31], -1, 0
	s_cmp_lt_i32 s25, 1
	s_cselect_b64 s[34:35], -1, 0
	s_or_b64 s[30:31], s[30:31], s[34:35]
	s_and_b64 vcc, exec, s[30:31]
	v_mov_b32_e32 v2, 0
	s_cbranch_vccnz .LBB0_11
; %bb.10:                               ;   in Loop: Header=BB0_3 Depth=1
	s_sub_i32 s29, 0, s26
	s_max_i32 s29, s29, 0
	s_max_i32 s30, s26, 0
	s_add_i32 s31, s29, s26
	s_sub_i32 s31, s30, s31
	s_add_i32 s31, s31, s25
	s_min_i32 s31, s31, 8
	s_sub_i32 s31, s31, s30
	v_lshrrev_b32_sdwa v2, s30, v27 dst_sel:DWORD dst_unused:UNUSED_PAD src0_sel:DWORD src1_sel:BYTE_0
	v_bfe_u32 v2, v2, 0, s31
	v_lshlrev_b32_e32 v2, s29, v2
.LBB0_11:                               ;   in Loop: Header=BB0_3 Depth=1
	s_cmp_gt_i32 s26, 15
	s_cselect_b64 s[30:31], -1, 0
	s_cmp_lt_i32 s25, 9
	s_cselect_b64 s[34:35], -1, 0
	s_or_b64 s[30:31], s[30:31], s[34:35]
	s_and_b64 vcc, exec, s[30:31]
	s_cbranch_vccnz .LBB0_13
; %bb.12:                               ;   in Loop: Header=BB0_3 Depth=1
	s_max_i32 s29, s26, 8
	s_sub_i32 s25, 8, s26
	s_add_i32 s29, s29, -8
	s_max_i32 s25, s25, 0
	s_add_i32 s24, s29, s24
	s_sub_i32 s24, s24, s25
	s_min_i32 s24, s24, 8
	s_sub_i32 s24, s24, s29
	v_lshrrev_b32_sdwa v3, s29, v26 dst_sel:DWORD dst_unused:UNUSED_PAD src0_sel:DWORD src1_sel:BYTE_0
	v_bfe_u32 v3, v3, 0, s24
	v_lshl_or_b32 v2, v3, s25, v2
.LBB0_13:                               ;   in Loop: Header=BB0_3 Depth=1
	v_and_b32_e32 v3, 7, v2
	v_mul_u32_u24_e32 v3, 0xff, v3
	v_lshrrev_b32_e32 v2, 3, v2
	v_add_lshl_u32 v3, v3, v0, 1
	v_add_lshl_u32 v29, v3, v2, 1
	ds_read_u16 v28, v29
	s_waitcnt lgkmcnt(0)
	v_add_u16_e32 v2, 1, v28
	ds_write_b16 v29, v2
	s_waitcnt lgkmcnt(0)
	s_barrier
	ds_read2_b64 v[6:9], v13 offset1:1
	ds_read2_b64 v[2:5], v13 offset0:2 offset1:3
	s_waitcnt lgkmcnt(1)
	v_add_u32_e32 v30, v7, v6
	v_add3_u32 v30, v30, v8, v9
	s_waitcnt lgkmcnt(0)
	v_add3_u32 v30, v30, v2, v3
	v_add3_u32 v5, v30, v4, v5
	s_nop 1
	v_mov_b32_dpp v30, v5 row_shr:1 row_mask:0xf bank_mask:0xf
	v_cndmask_b32_e64 v30, v30, 0, s[4:5]
	v_add_u32_e32 v5, v30, v5
	s_nop 1
	v_mov_b32_dpp v30, v5 row_shr:2 row_mask:0xf bank_mask:0xf
	v_cndmask_b32_e64 v30, 0, v30, s[6:7]
	v_add_u32_e32 v5, v5, v30
	;; [unrolled: 4-line block ×4, first 2 shown]
	s_nop 1
	v_mov_b32_dpp v30, v5 row_bcast:15 row_mask:0xf bank_mask:0xf
	v_cndmask_b32_e64 v30, v30, 0, s[12:13]
	v_add_u32_e32 v5, v5, v30
	s_nop 1
	v_mov_b32_dpp v30, v5 row_bcast:31 row_mask:0xf bank_mask:0xf
	v_cndmask_b32_e64 v30, 0, v30, s[14:15]
	v_add_u32_e32 v5, v5, v30
	s_and_saveexec_b64 s[24:25], s[16:17]
	s_cbranch_execz .LBB0_15
; %bb.14:                               ;   in Loop: Header=BB0_3 Depth=1
	ds_write_b32 v21, v5 offset:8160
.LBB0_15:                               ;   in Loop: Header=BB0_3 Depth=1
	s_or_b64 exec, exec, s[24:25]
	s_waitcnt lgkmcnt(0)
	s_barrier
	s_and_saveexec_b64 s[24:25], s[0:1]
	s_cbranch_execz .LBB0_17
; %bb.16:                               ;   in Loop: Header=BB0_3 Depth=1
	ds_read_b32 v30, v22 offset:8160
	s_waitcnt lgkmcnt(0)
	s_nop 0
	v_mov_b32_dpp v31, v30 row_shr:1 row_mask:0xf bank_mask:0xf
	v_cndmask_b32_e64 v31, v31, 0, s[20:21]
	v_add_u32_e32 v30, v31, v30
	s_nop 1
	v_mov_b32_dpp v31, v30 row_shr:2 row_mask:0xf bank_mask:0xf
	v_cndmask_b32_e64 v31, 0, v31, s[22:23]
	v_add_u32_e32 v30, v30, v31
	ds_write_b32 v22, v30 offset:8160
.LBB0_17:                               ;   in Loop: Header=BB0_3 Depth=1
	s_or_b64 exec, exec, s[24:25]
	v_mov_b32_e32 v30, 0
	s_waitcnt lgkmcnt(0)
	s_barrier
	s_and_saveexec_b64 s[24:25], s[2:3]
	s_cbranch_execz .LBB0_19
; %bb.18:                               ;   in Loop: Header=BB0_3 Depth=1
	ds_read_b32 v30, v21 offset:8156
.LBB0_19:                               ;   in Loop: Header=BB0_3 Depth=1
	s_or_b64 exec, exec, s[24:25]
	s_waitcnt lgkmcnt(0)
	v_add_u32_e32 v5, v30, v5
	ds_bpermute_b32 v31, v15, v5
	ds_read_b32 v32, v24 offset:8172
	v_lshlrev_b16_e32 v5, 8, v27
	v_or_b32_sdwa v5, v5, v26 dst_sel:DWORD dst_unused:UNUSED_PAD src0_sel:DWORD src1_sel:BYTE_0
	s_add_i32 s26, s26, 4
	s_waitcnt lgkmcnt(1)
	v_cndmask_b32_e64 v26, v31, v30, s[18:19]
	s_waitcnt lgkmcnt(0)
	v_lshl_add_u32 v26, v32, 16, v26
	v_add_u32_e32 v27, v26, v6
	v_add_u32_e32 v6, v27, v7
	;; [unrolled: 1-line block ×7, first 2 shown]
	ds_write2_b64 v13, v[26:27], v[6:7] offset1:1
	ds_write2_b64 v13, v[8:9], v[2:3] offset0:2 offset1:3
	s_waitcnt lgkmcnt(0)
	s_barrier
	ds_read_u16 v2, v29
	v_lshlrev_b32_sdwa v3, v25, v28 dst_sel:DWORD dst_unused:UNUSED_PAD src0_sel:DWORD src1_sel:WORD_0
	s_cmp_ge_u32 s26, s27
	s_waitcnt lgkmcnt(0)
	v_lshl_add_u32 v2, v2, 1, v3
	s_cbranch_scc0 .LBB0_2
; %bb.20:
                                        ; implicit-def: $vgpr26
                                        ; implicit-def: $vgpr27
.LBB0_21:
	s_barrier
	ds_write_b16 v2, v5
	s_waitcnt lgkmcnt(0)
	s_barrier
	v_add_co_u32_e32 v10, vcc, s28, v11
	v_addc_co_u32_e32 v11, vcc, 0, v12, vcc
	s_branch .LBB0_72
.LBB0_22:
                                        ; implicit-def: $vgpr14
	v_add_co_u32_e32 v10, vcc, s28, v11
	v_addc_co_u32_e32 v11, vcc, 0, v12, vcc
	s_cbranch_execz .LBB0_72
; %bb.23:
	v_sub_u32_e32 v1, 0x6f8, v0
	s_mov_b32 s0, 0x1010102
	v_mul_hi_u32 v1, v1, s0
	v_add_u32_e32 v2, 3, v1
	v_add_u32_e32 v12, 1, v1
	v_and_b32_e32 v15, 30, v2
	v_mov_b32_e32 v1, v12
	s_mov_b32 s6, 0
	s_mov_b64 s[2:3], 0
	v_mov_b32_e32 v2, 0
	s_branch .LBB0_25
.LBB0_24:                               ;   in Loop: Header=BB0_25 Depth=1
	s_or_b64 exec, exec, s[0:1]
	s_add_i32 s6, s6, 2
	v_cmp_eq_u32_e32 vcc, s6, v15
	s_or_b64 s[2:3], vcc, s[2:3]
	v_add_u32_e32 v19, 0x7f8, v19
	s_andn2_b64 exec, exec, s[2:3]
	s_cbranch_execz .LBB0_29
.LBB0_25:                               ; =>This Inner Loop Header: Depth=1
	s_or_b32 s0, s6, 1
	v_cmp_le_u32_e32 vcc, s0, v1
	v_cmp_le_u32_e64 s[0:1], s6, v12
	s_and_saveexec_b64 s[4:5], s[0:1]
	s_cbranch_execz .LBB0_27
; %bb.26:                               ;   in Loop: Header=BB0_25 Depth=1
	ds_write_b32 v19, v2
.LBB0_27:                               ;   in Loop: Header=BB0_25 Depth=1
	s_or_b64 exec, exec, s[4:5]
	s_and_saveexec_b64 s[0:1], vcc
	s_cbranch_execz .LBB0_24
; %bb.28:                               ;   in Loop: Header=BB0_25 Depth=1
	ds_write_b32 v19, v2 offset:1020
	s_branch .LBB0_24
.LBB0_29:
	s_or_b64 exec, exec, s[2:3]
	v_and_b32_e32 v3, 15, v20
	v_mov_b32_e32 v4, 7
	v_mov_b32_e32 v5, 2
	v_and_b32_sdwa v4, v3, v4 dst_sel:DWORD dst_unused:UNUSED_PAD src0_sel:WORD_0 src1_sel:DWORD
	s_movk_i32 s0, 0xff
	v_lshrrev_b32_sdwa v3, v5, v3 dst_sel:DWORD dst_unused:UNUSED_PAD src0_sel:DWORD src1_sel:WORD_0
	v_mad_u32_u24 v4, v4, s0, v0
	v_and_b32_e32 v3, 2, v3
	v_lshl_or_b32 v23, v4, 2, v3
	ds_read_u16 v21, v23
	v_and_b32_e32 v2, 0xc0, v0
	v_mbcnt_hi_u32_b32 v22, -1, v17
	v_min_u32_e32 v2, 0xbf, v2
	v_add_u32_e32 v19, 63, v2
	s_waitcnt lgkmcnt(0)
	v_add_u16_e32 v3, 1, v21
	ds_write_b16 v23, v3
	s_waitcnt lgkmcnt(0)
	s_barrier
	ds_read2_b64 v[6:9], v13 offset1:1
	v_and_b32_e32 v2, 16, v22
	v_cmp_eq_u32_e64 s[0:1], 0, v2
	ds_read2_b64 v[2:5], v13 offset0:2 offset1:3
	v_cmp_eq_u32_e32 vcc, v19, v0
	s_waitcnt lgkmcnt(1)
	v_add_u32_e32 v19, v7, v6
	v_add3_u32 v19, v19, v8, v9
	v_and_b32_e32 v17, 15, v22
	s_waitcnt lgkmcnt(0)
	v_add3_u32 v19, v19, v2, v3
	v_add3_u32 v5, v19, v4, v5
	v_cmp_eq_u32_e64 s[6:7], 0, v17
	v_cmp_lt_u32_e64 s[8:9], 1, v17
	v_mov_b32_dpp v19, v5 row_shr:1 row_mask:0xf bank_mask:0xf
	v_cndmask_b32_e64 v19, v19, 0, s[6:7]
	v_add_u32_e32 v5, v19, v5
	v_cmp_lt_u32_e64 s[10:11], 3, v17
	v_cmp_lt_u32_e64 s[12:13], 7, v17
	v_mov_b32_dpp v19, v5 row_shr:2 row_mask:0xf bank_mask:0xf
	v_cndmask_b32_e64 v19, 0, v19, s[8:9]
	v_add_u32_e32 v5, v5, v19
	v_bfe_i32 v24, v22, 4, 1
	v_cmp_lt_u32_e64 s[16:17], 31, v22
	v_mov_b32_dpp v19, v5 row_shr:4 row_mask:0xf bank_mask:0xf
	v_cndmask_b32_e64 v19, 0, v19, s[10:11]
	v_add_u32_e32 v5, v5, v19
	v_mul_i32_i24_e32 v14, 0xffffffe2, v0
	v_and_b32_e32 v16, 12, v16
	v_mov_b32_dpp v19, v5 row_shr:8 row_mask:0xf bank_mask:0xf
	v_cndmask_b32_e64 v17, 0, v19, s[12:13]
	v_add_u32_e32 v5, v5, v17
	s_nop 1
	v_mov_b32_dpp v17, v5 row_bcast:15 row_mask:0xf bank_mask:0xf
	v_and_b32_e32 v17, v24, v17
	v_add_u32_e32 v5, v5, v17
	s_nop 1
	v_mov_b32_dpp v17, v5 row_bcast:31 row_mask:0xf bank_mask:0xf
	v_cndmask_b32_e64 v17, 0, v17, s[16:17]
	v_add_u32_e32 v24, v5, v17
	s_and_saveexec_b64 s[2:3], vcc
	s_cbranch_execz .LBB0_31
; %bb.30:
	ds_write_b32 v16, v24 offset:8160
.LBB0_31:
	s_or_b64 exec, exec, s[2:3]
	v_and_b32_e32 v5, 3, v22
	v_add_u32_e32 v14, v13, v14
	v_cmp_gt_u32_e64 s[14:15], 4, v0
	v_cmp_eq_u32_e64 s[4:5], 0, v5
	v_lshl_add_u32 v17, v0, 1, v14
	v_cmp_lt_u32_e64 s[2:3], 1, v5
	s_waitcnt lgkmcnt(0)
	s_barrier
	s_and_saveexec_b64 s[18:19], s[14:15]
	s_cbranch_execz .LBB0_33
; %bb.32:
	ds_read_b32 v5, v17 offset:8160
	s_waitcnt lgkmcnt(0)
	s_nop 0
	v_mov_b32_dpp v19, v5 row_shr:1 row_mask:0xf bank_mask:0xf
	v_cndmask_b32_e64 v19, v19, 0, s[4:5]
	v_add_u32_e32 v5, v19, v5
	s_nop 1
	v_mov_b32_dpp v19, v5 row_shr:2 row_mask:0xf bank_mask:0xf
	v_cndmask_b32_e64 v19, 0, v19, s[2:3]
	v_add_u32_e32 v5, v5, v19
	ds_write_b32 v17, v5 offset:8160
.LBB0_33:
	s_or_b64 exec, exec, s[18:19]
	v_cmp_lt_u32_e64 s[18:19], 63, v0
	v_mov_b32_e32 v5, 0
	v_mov_b32_e32 v25, 0
	s_waitcnt lgkmcnt(0)
	s_barrier
	s_and_saveexec_b64 s[20:21], s[18:19]
	s_cbranch_execz .LBB0_35
; %bb.34:
	ds_read_b32 v25, v16 offset:8156
.LBB0_35:
	s_or_b64 exec, exec, s[20:21]
	v_and_b32_e32 v19, 64, v22
	v_add_u32_e32 v26, -1, v22
	v_cmp_lt_i32_e64 s[20:21], v26, v19
	v_cndmask_b32_e64 v19, v26, v22, s[20:21]
	v_lshlrev_b32_e32 v19, 2, v19
	s_waitcnt lgkmcnt(0)
	v_add_u32_e32 v24, v25, v24
	ds_bpermute_b32 v24, v19, v24
	ds_read_b32 v26, v5 offset:8172
	v_lshlrev_b16_e32 v20, 8, v20
	v_cmp_eq_u32_e64 s[20:21], 0, v22
	v_or_b32_sdwa v18, v20, v18 dst_sel:DWORD dst_unused:UNUSED_PAD src0_sel:DWORD src1_sel:BYTE_0
	s_waitcnt lgkmcnt(1)
	v_cndmask_b32_e64 v20, v24, v25, s[20:21]
	s_waitcnt lgkmcnt(0)
	v_lshl_add_u32 v24, v26, 16, v20
	v_add_u32_e32 v25, v24, v6
	v_add_u32_e32 v6, v25, v7
	;; [unrolled: 1-line block ×7, first 2 shown]
	ds_write2_b64 v13, v[24:25], v[6:7] offset1:1
	ds_write2_b64 v13, v[8:9], v[2:3] offset0:2 offset1:3
	s_waitcnt lgkmcnt(0)
	s_barrier
	ds_read_u16 v2, v23
	v_mov_b32_e32 v3, 1
	v_lshlrev_b32_sdwa v3, v3, v21 dst_sel:DWORD dst_unused:UNUSED_PAD src0_sel:DWORD src1_sel:WORD_0
	s_waitcnt lgkmcnt(0)
	s_barrier
	v_lshl_add_u32 v2, v2, 1, v3
	ds_write_b16 v2, v18
	s_waitcnt lgkmcnt(0)
	s_barrier
	ds_read_u16 v18, v14
	s_mov_b32 s30, 0
	s_mov_b64 s[26:27], 0
	v_mov_b32_e32 v2, v17
	s_waitcnt lgkmcnt(0)
	s_barrier
	s_branch .LBB0_37
.LBB0_36:                               ;   in Loop: Header=BB0_37 Depth=1
	s_or_b64 exec, exec, s[24:25]
	s_add_i32 s30, s30, 2
	v_cmp_eq_u32_e64 s[22:23], s30, v15
	s_or_b64 s[26:27], s[22:23], s[26:27]
	v_add_u32_e32 v2, 0x7f8, v2
	s_andn2_b64 exec, exec, s[26:27]
	s_cbranch_execz .LBB0_41
.LBB0_37:                               ; =>This Inner Loop Header: Depth=1
	s_or_b32 s22, s30, 1
	v_cmp_le_u32_e64 s[22:23], s22, v1
	v_cmp_le_u32_e64 s[24:25], s30, v12
	s_and_saveexec_b64 s[28:29], s[24:25]
	s_cbranch_execz .LBB0_39
; %bb.38:                               ;   in Loop: Header=BB0_37 Depth=1
	ds_write_b32 v2, v5
.LBB0_39:                               ;   in Loop: Header=BB0_37 Depth=1
	s_or_b64 exec, exec, s[28:29]
	s_and_saveexec_b64 s[24:25], s[22:23]
	s_cbranch_execz .LBB0_36
; %bb.40:                               ;   in Loop: Header=BB0_37 Depth=1
	ds_write_b32 v2, v5 offset:1020
	s_branch .LBB0_36
.LBB0_41:
	s_or_b64 exec, exec, s[26:27]
	v_lshrrev_b16_e32 v2, 12, v18
	v_and_b32_e32 v3, 7, v2
	s_movk_i32 s22, 0xff
	v_lshrrev_b32_e32 v2, 2, v2
	v_mad_u32_u24 v3, v3, s22, v0
	v_and_b32_e32 v2, 2, v2
	v_lshl_or_b32 v21, v3, 2, v2
	ds_read_u16 v20, v21
	s_waitcnt lgkmcnt(0)
	v_add_u16_e32 v2, 1, v20
	ds_write_b16 v21, v2
	s_waitcnt lgkmcnt(0)
	s_barrier
	ds_read2_b64 v[6:9], v13 offset1:1
	ds_read2_b64 v[2:5], v13 offset0:2 offset1:3
	s_waitcnt lgkmcnt(1)
	v_add_u32_e32 v22, v7, v6
	v_add3_u32 v22, v22, v8, v9
	s_waitcnt lgkmcnt(0)
	v_add3_u32 v22, v22, v2, v3
	v_add3_u32 v5, v22, v4, v5
	s_nop 1
	v_mov_b32_dpp v22, v5 row_shr:1 row_mask:0xf bank_mask:0xf
	v_cndmask_b32_e64 v22, v22, 0, s[6:7]
	v_add_u32_e32 v5, v22, v5
	s_nop 1
	v_mov_b32_dpp v22, v5 row_shr:2 row_mask:0xf bank_mask:0xf
	v_cndmask_b32_e64 v22, 0, v22, s[8:9]
	v_add_u32_e32 v5, v5, v22
	;; [unrolled: 4-line block ×4, first 2 shown]
	s_nop 1
	v_mov_b32_dpp v22, v5 row_bcast:15 row_mask:0xf bank_mask:0xf
	v_cndmask_b32_e64 v22, v22, 0, s[0:1]
	v_add_u32_e32 v5, v5, v22
	s_nop 1
	v_mov_b32_dpp v22, v5 row_bcast:31 row_mask:0xf bank_mask:0xf
	v_cndmask_b32_e64 v22, 0, v22, s[16:17]
	v_add_u32_e32 v22, v5, v22
	s_and_saveexec_b64 s[22:23], vcc
	s_cbranch_execz .LBB0_43
; %bb.42:
	ds_write_b32 v16, v22 offset:8160
.LBB0_43:
	s_or_b64 exec, exec, s[22:23]
	s_waitcnt lgkmcnt(0)
	s_barrier
	s_and_saveexec_b64 s[22:23], s[14:15]
	s_cbranch_execz .LBB0_45
; %bb.44:
	ds_read_b32 v5, v17 offset:8160
	s_waitcnt lgkmcnt(0)
	s_nop 0
	v_mov_b32_dpp v23, v5 row_shr:1 row_mask:0xf bank_mask:0xf
	v_cndmask_b32_e64 v23, v23, 0, s[4:5]
	v_add_u32_e32 v5, v23, v5
	s_nop 1
	v_mov_b32_dpp v23, v5 row_shr:2 row_mask:0xf bank_mask:0xf
	v_cndmask_b32_e64 v23, 0, v23, s[2:3]
	v_add_u32_e32 v5, v5, v23
	ds_write_b32 v17, v5 offset:8160
.LBB0_45:
	s_or_b64 exec, exec, s[22:23]
	v_mov_b32_e32 v5, 0
	v_mov_b32_e32 v23, 0
	s_waitcnt lgkmcnt(0)
	s_barrier
	s_and_saveexec_b64 s[22:23], s[18:19]
	s_cbranch_execz .LBB0_47
; %bb.46:
	ds_read_b32 v23, v16 offset:8156
.LBB0_47:
	s_or_b64 exec, exec, s[22:23]
	s_waitcnt lgkmcnt(0)
	v_add_u32_e32 v22, v23, v22
	ds_bpermute_b32 v22, v19, v22
	ds_read_b32 v24, v5 offset:8172
	v_mov_b32_e32 v25, 8
	v_lshlrev_b16_sdwa v25, v25, v18 dst_sel:DWORD dst_unused:UNUSED_PAD src0_sel:DWORD src1_sel:BYTE_1
	v_or_b32_sdwa v18, v25, v18 dst_sel:DWORD dst_unused:UNUSED_PAD src0_sel:DWORD src1_sel:BYTE_0
	s_waitcnt lgkmcnt(1)
	v_cndmask_b32_e64 v22, v22, v23, s[20:21]
	s_waitcnt lgkmcnt(0)
	v_lshl_add_u32 v22, v24, 16, v22
	v_add_u32_e32 v23, v22, v6
	v_add_u32_e32 v6, v23, v7
	;; [unrolled: 1-line block ×7, first 2 shown]
	ds_write2_b64 v13, v[22:23], v[6:7] offset1:1
	ds_write2_b64 v13, v[8:9], v[2:3] offset0:2 offset1:3
	s_waitcnt lgkmcnt(0)
	s_barrier
	ds_read_u16 v2, v21
	v_mov_b32_e32 v3, 1
	v_lshlrev_b32_sdwa v3, v3, v20 dst_sel:DWORD dst_unused:UNUSED_PAD src0_sel:DWORD src1_sel:WORD_0
	s_waitcnt lgkmcnt(0)
	s_barrier
	v_lshl_add_u32 v2, v2, 1, v3
	ds_write_b16 v2, v18
	s_waitcnt lgkmcnt(0)
	s_barrier
	ds_read_u16 v18, v14
	s_mov_b32 s30, 0
	s_mov_b64 s[26:27], 0
	v_mov_b32_e32 v2, v17
	s_waitcnt lgkmcnt(0)
	s_barrier
	s_branch .LBB0_49
.LBB0_48:                               ;   in Loop: Header=BB0_49 Depth=1
	s_or_b64 exec, exec, s[24:25]
	s_add_i32 s30, s30, 2
	v_cmp_eq_u32_e64 s[22:23], s30, v15
	s_or_b64 s[26:27], s[22:23], s[26:27]
	v_add_u32_e32 v2, 0x7f8, v2
	s_andn2_b64 exec, exec, s[26:27]
	s_cbranch_execz .LBB0_53
.LBB0_49:                               ; =>This Inner Loop Header: Depth=1
	s_or_b32 s22, s30, 1
	v_cmp_le_u32_e64 s[22:23], s22, v1
	v_cmp_le_u32_e64 s[24:25], s30, v12
	s_and_saveexec_b64 s[28:29], s[24:25]
	s_cbranch_execz .LBB0_51
; %bb.50:                               ;   in Loop: Header=BB0_49 Depth=1
	ds_write_b32 v2, v5
.LBB0_51:                               ;   in Loop: Header=BB0_49 Depth=1
	s_or_b64 exec, exec, s[28:29]
	s_and_saveexec_b64 s[24:25], s[22:23]
	s_cbranch_execz .LBB0_48
; %bb.52:                               ;   in Loop: Header=BB0_49 Depth=1
	ds_write_b32 v2, v5 offset:1020
	s_branch .LBB0_48
.LBB0_53:
	s_or_b64 exec, exec, s[26:27]
	s_movk_i32 s22, 0xff
	v_and_b32_e32 v2, 7, v18
	v_lshrrev_b32_e32 v3, 2, v18
	v_mad_u32_u24 v2, v2, s22, v0
	v_and_b32_e32 v3, 2, v3
	v_lshl_or_b32 v21, v2, 2, v3
	ds_read_u16 v20, v21
	s_waitcnt lgkmcnt(0)
	v_add_u16_e32 v2, 1, v20
	ds_write_b16 v21, v2
	s_waitcnt lgkmcnt(0)
	s_barrier
	ds_read2_b64 v[6:9], v13 offset1:1
	ds_read2_b64 v[2:5], v13 offset0:2 offset1:3
	s_waitcnt lgkmcnt(1)
	v_add_u32_e32 v22, v7, v6
	v_add3_u32 v22, v22, v8, v9
	s_waitcnt lgkmcnt(0)
	v_add3_u32 v22, v22, v2, v3
	v_add3_u32 v5, v22, v4, v5
	s_nop 1
	v_mov_b32_dpp v22, v5 row_shr:1 row_mask:0xf bank_mask:0xf
	v_cndmask_b32_e64 v22, v22, 0, s[6:7]
	v_add_u32_e32 v5, v22, v5
	s_nop 1
	v_mov_b32_dpp v22, v5 row_shr:2 row_mask:0xf bank_mask:0xf
	v_cndmask_b32_e64 v22, 0, v22, s[8:9]
	v_add_u32_e32 v5, v5, v22
	s_nop 1
	v_mov_b32_dpp v22, v5 row_shr:4 row_mask:0xf bank_mask:0xf
	v_cndmask_b32_e64 v22, 0, v22, s[10:11]
	v_add_u32_e32 v5, v5, v22
	s_nop 1
	v_mov_b32_dpp v22, v5 row_shr:8 row_mask:0xf bank_mask:0xf
	v_cndmask_b32_e64 v22, 0, v22, s[12:13]
	v_add_u32_e32 v5, v5, v22
	s_nop 1
	v_mov_b32_dpp v22, v5 row_bcast:15 row_mask:0xf bank_mask:0xf
	v_cndmask_b32_e64 v22, v22, 0, s[0:1]
	v_add_u32_e32 v5, v5, v22
	s_nop 1
	v_mov_b32_dpp v22, v5 row_bcast:31 row_mask:0xf bank_mask:0xf
	v_cndmask_b32_e64 v22, 0, v22, s[16:17]
	v_add_u32_e32 v22, v5, v22
	s_and_saveexec_b64 s[22:23], vcc
	s_cbranch_execz .LBB0_55
; %bb.54:
	ds_write_b32 v16, v22 offset:8160
.LBB0_55:
	s_or_b64 exec, exec, s[22:23]
	s_waitcnt lgkmcnt(0)
	s_barrier
	s_and_saveexec_b64 s[22:23], s[14:15]
	s_cbranch_execz .LBB0_57
; %bb.56:
	ds_read_b32 v5, v17 offset:8160
	s_waitcnt lgkmcnt(0)
	s_nop 0
	v_mov_b32_dpp v23, v5 row_shr:1 row_mask:0xf bank_mask:0xf
	v_cndmask_b32_e64 v23, v23, 0, s[4:5]
	v_add_u32_e32 v5, v23, v5
	s_nop 1
	v_mov_b32_dpp v23, v5 row_shr:2 row_mask:0xf bank_mask:0xf
	v_cndmask_b32_e64 v23, 0, v23, s[2:3]
	v_add_u32_e32 v5, v5, v23
	ds_write_b32 v17, v5 offset:8160
.LBB0_57:
	s_or_b64 exec, exec, s[22:23]
	v_mov_b32_e32 v5, 0
	v_mov_b32_e32 v23, 0
	s_waitcnt lgkmcnt(0)
	s_barrier
	s_and_saveexec_b64 s[22:23], s[18:19]
	s_cbranch_execz .LBB0_59
; %bb.58:
	ds_read_b32 v23, v16 offset:8156
.LBB0_59:
	s_or_b64 exec, exec, s[22:23]
	s_waitcnt lgkmcnt(0)
	v_add_u32_e32 v22, v23, v22
	ds_bpermute_b32 v22, v19, v22
	ds_read_b32 v24, v5 offset:8172
	v_and_b32_e32 v25, 0xffffff00, v18
	v_or_b32_sdwa v18, v25, v18 dst_sel:DWORD dst_unused:UNUSED_PAD src0_sel:DWORD src1_sel:BYTE_0
	s_mov_b32 s30, 0
	s_waitcnt lgkmcnt(1)
	v_cndmask_b32_e64 v22, v22, v23, s[20:21]
	s_waitcnt lgkmcnt(0)
	v_lshl_add_u32 v22, v24, 16, v22
	v_add_u32_e32 v23, v22, v6
	v_add_u32_e32 v6, v23, v7
	;; [unrolled: 1-line block ×7, first 2 shown]
	ds_write2_b64 v13, v[22:23], v[6:7] offset1:1
	ds_write2_b64 v13, v[8:9], v[2:3] offset0:2 offset1:3
	s_waitcnt lgkmcnt(0)
	s_barrier
	ds_read_u16 v2, v21
	v_mov_b32_e32 v3, 1
	v_lshlrev_b32_sdwa v3, v3, v20 dst_sel:DWORD dst_unused:UNUSED_PAD src0_sel:DWORD src1_sel:WORD_0
	s_waitcnt lgkmcnt(0)
	s_barrier
	v_lshl_add_u32 v2, v2, 1, v3
	ds_write_b16 v2, v18
	s_waitcnt lgkmcnt(0)
	s_barrier
	ds_read_u16 v8, v14
	s_mov_b64 s[26:27], 0
	v_mov_b32_e32 v2, v17
	s_waitcnt lgkmcnt(0)
	s_barrier
	s_branch .LBB0_61
.LBB0_60:                               ;   in Loop: Header=BB0_61 Depth=1
	s_or_b64 exec, exec, s[24:25]
	s_add_i32 s30, s30, 2
	v_cmp_eq_u32_e64 s[22:23], s30, v15
	s_or_b64 s[26:27], s[22:23], s[26:27]
	v_add_u32_e32 v2, 0x7f8, v2
	s_andn2_b64 exec, exec, s[26:27]
	s_cbranch_execz .LBB0_65
.LBB0_61:                               ; =>This Inner Loop Header: Depth=1
	s_or_b32 s22, s30, 1
	v_cmp_le_u32_e64 s[22:23], s22, v1
	v_cmp_le_u32_e64 s[24:25], s30, v12
	s_and_saveexec_b64 s[28:29], s[24:25]
	s_cbranch_execz .LBB0_63
; %bb.62:                               ;   in Loop: Header=BB0_61 Depth=1
	ds_write_b32 v2, v5
.LBB0_63:                               ;   in Loop: Header=BB0_61 Depth=1
	s_or_b64 exec, exec, s[28:29]
	s_and_saveexec_b64 s[24:25], s[22:23]
	s_cbranch_execz .LBB0_60
; %bb.64:                               ;   in Loop: Header=BB0_61 Depth=1
	ds_write_b32 v2, v5 offset:1020
	s_branch .LBB0_60
.LBB0_65:
	s_or_b64 exec, exec, s[26:27]
	v_mov_b32_e32 v1, 4
	v_lshrrev_b16_sdwa v1, v1, v8 dst_sel:DWORD dst_unused:UNUSED_PAD src0_sel:DWORD src1_sel:BYTE_0
	s_movk_i32 s22, 0xff
	v_and_b32_e32 v2, 7, v1
	v_lshrrev_b32_e32 v1, 2, v1
	v_mad_u32_u24 v0, v2, s22, v0
	v_and_b32_e32 v1, 2, v1
	v_lshl_or_b32 v12, v0, 2, v1
	ds_read_u16 v9, v12
	s_waitcnt lgkmcnt(0)
	v_add_u16_e32 v0, 1, v9
	ds_write_b16 v12, v0
	s_waitcnt lgkmcnt(0)
	s_barrier
	ds_read2_b64 v[4:7], v13 offset1:1
	ds_read2_b64 v[0:3], v13 offset0:2 offset1:3
	s_waitcnt lgkmcnt(1)
	v_add_u32_e32 v15, v5, v4
	v_add3_u32 v15, v15, v6, v7
	s_waitcnt lgkmcnt(0)
	v_add3_u32 v15, v15, v0, v1
	v_add3_u32 v3, v15, v2, v3
	s_nop 1
	v_mov_b32_dpp v15, v3 row_shr:1 row_mask:0xf bank_mask:0xf
	v_cndmask_b32_e64 v15, v15, 0, s[6:7]
	v_add_u32_e32 v3, v15, v3
	s_nop 1
	v_mov_b32_dpp v15, v3 row_shr:2 row_mask:0xf bank_mask:0xf
	v_cndmask_b32_e64 v15, 0, v15, s[8:9]
	v_add_u32_e32 v3, v3, v15
	;; [unrolled: 4-line block ×4, first 2 shown]
	s_nop 1
	v_mov_b32_dpp v15, v3 row_bcast:15 row_mask:0xf bank_mask:0xf
	v_cndmask_b32_e64 v15, v15, 0, s[0:1]
	v_add_u32_e32 v3, v3, v15
	s_nop 1
	v_mov_b32_dpp v15, v3 row_bcast:31 row_mask:0xf bank_mask:0xf
	v_cndmask_b32_e64 v15, 0, v15, s[16:17]
	v_add_u32_e32 v3, v3, v15
	s_and_saveexec_b64 s[0:1], vcc
	s_cbranch_execz .LBB0_67
; %bb.66:
	ds_write_b32 v16, v3 offset:8160
.LBB0_67:
	s_or_b64 exec, exec, s[0:1]
	s_waitcnt lgkmcnt(0)
	s_barrier
	s_and_saveexec_b64 s[0:1], s[14:15]
	s_cbranch_execz .LBB0_69
; %bb.68:
	ds_read_b32 v15, v17 offset:8160
	s_waitcnt lgkmcnt(0)
	s_nop 0
	v_mov_b32_dpp v18, v15 row_shr:1 row_mask:0xf bank_mask:0xf
	v_cndmask_b32_e64 v18, v18, 0, s[4:5]
	v_add_u32_e32 v15, v18, v15
	s_nop 1
	v_mov_b32_dpp v18, v15 row_shr:2 row_mask:0xf bank_mask:0xf
	v_cndmask_b32_e64 v18, 0, v18, s[2:3]
	v_add_u32_e32 v15, v15, v18
	ds_write_b32 v17, v15 offset:8160
.LBB0_69:
	s_or_b64 exec, exec, s[0:1]
	v_mov_b32_e32 v17, 0
	v_mov_b32_e32 v15, 0
	s_waitcnt lgkmcnt(0)
	s_barrier
	s_and_saveexec_b64 s[0:1], s[18:19]
	s_cbranch_execz .LBB0_71
; %bb.70:
	ds_read_b32 v15, v16 offset:8156
.LBB0_71:
	s_or_b64 exec, exec, s[0:1]
	s_waitcnt lgkmcnt(0)
	v_add_u32_e32 v3, v15, v3
	ds_bpermute_b32 v3, v19, v3
	ds_read_b32 v16, v17 offset:8172
	v_and_b32_e32 v17, 0xffffff00, v8
	v_or_b32_sdwa v8, v17, v8 dst_sel:DWORD dst_unused:UNUSED_PAD src0_sel:DWORD src1_sel:BYTE_0
	s_waitcnt lgkmcnt(1)
	v_cndmask_b32_e64 v3, v3, v15, s[20:21]
	s_waitcnt lgkmcnt(0)
	v_lshl_add_u32 v16, v16, 16, v3
	v_add_u32_e32 v17, v16, v4
	v_add_u32_e32 v4, v17, v5
	;; [unrolled: 1-line block ×7, first 2 shown]
	ds_write2_b64 v13, v[16:17], v[4:5] offset1:1
	ds_write2_b64 v13, v[6:7], v[0:1] offset0:2 offset1:3
	s_waitcnt lgkmcnt(0)
	s_barrier
	ds_read_u16 v0, v12
	v_mov_b32_e32 v1, 1
	v_lshlrev_b32_sdwa v1, v1, v9 dst_sel:DWORD dst_unused:UNUSED_PAD src0_sel:DWORD src1_sel:WORD_0
	s_waitcnt lgkmcnt(0)
	s_barrier
	v_lshl_add_u32 v0, v0, 1, v1
	ds_write_b16 v0, v8
	s_waitcnt lgkmcnt(0)
	s_barrier
.LBB0_72:
	ds_read_u8 v0, v14 offset:1
	ds_read_u8 v1, v14
	s_waitcnt lgkmcnt(1)
	v_lshlrev_b16_e32 v0, 8, v0
	s_waitcnt lgkmcnt(0)
	v_or_b32_e32 v0, v1, v0
	global_store_short v[10:11], v0, off
	s_endpgm
	.section	.rodata,"a",@progbits
	.p2align	6, 0x0
	.amdhsa_kernel _Z15sort_key_kernelILj255ELj1ELb1ELb0EN10test_utils16custom_test_typeIhEEEvPT3_jj
		.amdhsa_group_segment_fixed_size 8176
		.amdhsa_private_segment_fixed_size 0
		.amdhsa_kernarg_size 16
		.amdhsa_user_sgpr_count 6
		.amdhsa_user_sgpr_private_segment_buffer 1
		.amdhsa_user_sgpr_dispatch_ptr 0
		.amdhsa_user_sgpr_queue_ptr 0
		.amdhsa_user_sgpr_kernarg_segment_ptr 1
		.amdhsa_user_sgpr_dispatch_id 0
		.amdhsa_user_sgpr_flat_scratch_init 0
		.amdhsa_user_sgpr_kernarg_preload_length 0
		.amdhsa_user_sgpr_kernarg_preload_offset 0
		.amdhsa_user_sgpr_private_segment_size 0
		.amdhsa_uses_dynamic_stack 0
		.amdhsa_system_sgpr_private_segment_wavefront_offset 0
		.amdhsa_system_sgpr_workgroup_id_x 1
		.amdhsa_system_sgpr_workgroup_id_y 0
		.amdhsa_system_sgpr_workgroup_id_z 0
		.amdhsa_system_sgpr_workgroup_info 0
		.amdhsa_system_vgpr_workitem_id 0
		.amdhsa_next_free_vgpr 33
		.amdhsa_next_free_sgpr 36
		.amdhsa_accum_offset 36
		.amdhsa_reserve_vcc 1
		.amdhsa_reserve_flat_scratch 0
		.amdhsa_float_round_mode_32 0
		.amdhsa_float_round_mode_16_64 0
		.amdhsa_float_denorm_mode_32 3
		.amdhsa_float_denorm_mode_16_64 3
		.amdhsa_dx10_clamp 1
		.amdhsa_ieee_mode 1
		.amdhsa_fp16_overflow 0
		.amdhsa_tg_split 0
		.amdhsa_exception_fp_ieee_invalid_op 0
		.amdhsa_exception_fp_denorm_src 0
		.amdhsa_exception_fp_ieee_div_zero 0
		.amdhsa_exception_fp_ieee_overflow 0
		.amdhsa_exception_fp_ieee_underflow 0
		.amdhsa_exception_fp_ieee_inexact 0
		.amdhsa_exception_int_div_zero 0
	.end_amdhsa_kernel
	.section	.text._Z15sort_key_kernelILj255ELj1ELb1ELb0EN10test_utils16custom_test_typeIhEEEvPT3_jj,"axG",@progbits,_Z15sort_key_kernelILj255ELj1ELb1ELb0EN10test_utils16custom_test_typeIhEEEvPT3_jj,comdat
.Lfunc_end0:
	.size	_Z15sort_key_kernelILj255ELj1ELb1ELb0EN10test_utils16custom_test_typeIhEEEvPT3_jj, .Lfunc_end0-_Z15sort_key_kernelILj255ELj1ELb1ELb0EN10test_utils16custom_test_typeIhEEEvPT3_jj
                                        ; -- End function
	.section	.AMDGPU.csdata,"",@progbits
; Kernel info:
; codeLenInByte = 4348
; NumSgprs: 40
; NumVgprs: 33
; NumAgprs: 0
; TotalNumVgprs: 33
; ScratchSize: 0
; MemoryBound: 0
; FloatMode: 240
; IeeeMode: 1
; LDSByteSize: 8176 bytes/workgroup (compile time only)
; SGPRBlocks: 4
; VGPRBlocks: 4
; NumSGPRsForWavesPerEU: 40
; NumVGPRsForWavesPerEU: 33
; AccumOffset: 36
; Occupancy: 8
; WaveLimiterHint : 0
; COMPUTE_PGM_RSRC2:SCRATCH_EN: 0
; COMPUTE_PGM_RSRC2:USER_SGPR: 6
; COMPUTE_PGM_RSRC2:TRAP_HANDLER: 0
; COMPUTE_PGM_RSRC2:TGID_X_EN: 1
; COMPUTE_PGM_RSRC2:TGID_Y_EN: 0
; COMPUTE_PGM_RSRC2:TGID_Z_EN: 0
; COMPUTE_PGM_RSRC2:TIDIG_COMP_CNT: 0
; COMPUTE_PGM_RSRC3_GFX90A:ACCUM_OFFSET: 8
; COMPUTE_PGM_RSRC3_GFX90A:TG_SPLIT: 0
	.section	.text._Z15sort_key_kernelILj129ELj2ELb0ELb1EN10test_utils16custom_test_typeIfEEEvPT3_jj,"axG",@progbits,_Z15sort_key_kernelILj129ELj2ELb0ELb1EN10test_utils16custom_test_typeIfEEEvPT3_jj,comdat
	.protected	_Z15sort_key_kernelILj129ELj2ELb0ELb1EN10test_utils16custom_test_typeIfEEEvPT3_jj ; -- Begin function _Z15sort_key_kernelILj129ELj2ELb0ELb1EN10test_utils16custom_test_typeIfEEEvPT3_jj
	.globl	_Z15sort_key_kernelILj129ELj2ELb0ELb1EN10test_utils16custom_test_typeIfEEEvPT3_jj
	.p2align	8
	.type	_Z15sort_key_kernelILj129ELj2ELb0ELb1EN10test_utils16custom_test_typeIfEEEvPT3_jj,@function
_Z15sort_key_kernelILj129ELj2ELb0ELb1EN10test_utils16custom_test_typeIfEEEvPT3_jj: ; @_Z15sort_key_kernelILj129ELj2ELb0ELb1EN10test_utils16custom_test_typeIfEEEvPT3_jj
; %bb.0:
	s_load_dwordx4 s[28:31], s[4:5], 0x0
	s_mul_i32 s0, s6, 0x102
	s_mov_b32 s1, 0
	s_lshl_b64 s[0:1], s[0:1], 3
	v_lshlrev_b32_e32 v1, 4, v0
	s_waitcnt lgkmcnt(0)
	s_add_u32 s26, s28, s0
	s_addc_u32 s27, s29, s1
	global_load_dwordx4 v[2:5], v1, s[26:27]
	v_mbcnt_lo_u32_b32 v7, -1, 0
	s_movk_i32 s4, 0x387
	v_mov_b32_e32 v8, 0x387
	v_mbcnt_hi_u32_b32 v7, -1, v7
	v_cmp_gt_u32_e32 vcc, s4, v0
	s_mov_b32 s9, 0x1fc07f1
	v_subb_co_u32_e64 v8, s[4:5], v8, v0, vcc
	v_add_u32_e32 v14, -1, v7
	v_and_b32_e32 v15, 64, v7
	v_lshrrev_b32_e32 v10, 4, v0
	v_mul_hi_u32 v8, v8, s9
	v_cmp_lt_i32_e64 s[18:19], v14, v15
	v_and_b32_e32 v12, 15, v7
	v_and_b32_e32 v13, 16, v7
	v_cmp_lt_u32_e64 s[4:5], 31, v7
	v_cmp_eq_u32_e64 s[6:7], 0, v7
	v_and_b32_e32 v25, 12, v10
	v_and_b32_e32 v10, 3, v7
	v_cndmask_b32_e64 v7, v14, v7, s[18:19]
	v_addc_co_u32_e32 v18, vcc, 0, v8, vcc
	s_cmp_eq_u32 s30, 0
	v_lshlrev_b32_e32 v26, 2, v7
	v_mov_b32_e32 v7, s27
	v_add_co_u32_e32 v14, vcc, s26, v1
	s_cselect_b64 s[26:27], -1, 0
	s_cmp_eq_u32 s31, 64
	s_cselect_b64 s[34:35], -1, 0
	v_addc_co_u32_e32 v15, vcc, 0, v7, vcc
	s_and_b64 s[26:27], s[26:27], s[34:35]
	v_bfrev_b32_e32 v6, -2
	s_and_b64 vcc, exec, s[26:27]
	v_and_b32_e32 v9, 0xc0, v0
	v_min_u32_e32 v9, 0x41, v9
	s_movk_i32 s8, 0xffe4
	v_lshlrev_b32_e32 v19, 5, v0
	v_mul_i32_i24_e32 v11, 0xffffffe4, v0
	v_add_u32_e32 v9, 63, v9
	s_mov_b64 s[28:29], -1
	v_cmp_gt_u32_e64 s[0:1], 3, v0
	v_cmp_lt_u32_e64 s[2:3], 63, v0
	v_mul_u32_u24_e32 v17, 12, v0
	v_mad_i32_i24 v24, v0, s8, v19
	v_lshl_add_u32 v16, v0, 5, v11
	v_cmp_eq_u32_e64 s[8:9], 0, v12
	v_cmp_lt_u32_e64 s[10:11], 1, v12
	v_cmp_lt_u32_e64 s[12:13], 3, v12
	;; [unrolled: 1-line block ×3, first 2 shown]
	v_cmp_eq_u32_e64 s[16:17], 0, v13
	v_cmp_eq_u32_e64 s[18:19], 0, v10
	v_cmp_lt_u32_e64 s[20:21], 1, v10
	v_cmp_eq_u32_e64 s[22:23], v9, v0
	v_lshrrev_b32_e32 v27, 1, v18
	v_cmp_lt_u32_e64 s[24:25], 5, v18
	s_waitcnt vmcnt(0)
	v_cmp_gt_i32_e64 s[26:27], 0, v2
	v_cndmask_b32_e64 v1, v6, 0, s[26:27]
	v_cmp_gt_i32_e64 s[26:27], 0, v3
	v_cndmask_b32_e64 v7, v6, 0, s[26:27]
	;; [unrolled: 2-line block ×4, first 2 shown]
	v_xor_b32_e32 v3, v7, v3
	v_xor_b32_e32 v2, v1, v2
	;; [unrolled: 1-line block ×4, first 2 shown]
	s_cbranch_vccnz .LBB1_39
; %bb.1:
	v_add_u32_e32 v6, 1, v27
	v_and_b32_e32 v7, 3, v6
	v_and_b32_e32 v28, 12, v6
	v_mov_b32_e32 v6, 0x408
	v_mov_b32_e32 v1, v18
	v_cmp_ne_u32_e64 s[26:27], 0, v7
	v_lshl_add_u32 v29, v0, 2, v6
	s_movk_i32 s33, 0x204
	v_mul_u32_u24_e32 v30, 0x204, v7
	v_mov_b32_e32 v31, 0
	v_mov_b32_e32 v32, 3
	v_pk_mov_b32 v[8:9], v[4:5], v[4:5] op_sel:[0,1]
	v_pk_mov_b32 v[6:7], v[2:3], v[2:3] op_sel:[0,1]
	s_branch .LBB1_3
.LBB1_2:                                ;   in Loop: Header=BB1_3 Depth=1
	v_add_u32_e32 v6, v24, v17
	s_barrier
	ds_write_b64 v10, v[22:23]
	ds_write_b64 v11, v[20:21]
	s_waitcnt lgkmcnt(0)
	s_barrier
	ds_read2_b64 v[6:9], v6 offset1:1
	s_waitcnt lgkmcnt(0)
	s_barrier
	s_cbranch_execz .LBB1_38
.LBB1_3:                                ; =>This Loop Header: Depth=1
                                        ;     Child Loop BB1_6 Depth 2
                                        ;     Child Loop BB1_26 Depth 2
	v_pk_mov_b32 v[22:23], v[6:7], v[6:7] op_sel:[0,1]
	v_pk_mov_b32 v[20:21], v[8:9], v[8:9] op_sel:[0,1]
	v_mov_b32_e32 v9, 0
	s_and_saveexec_b64 s[34:35], s[24:25]
	s_cbranch_execz .LBB1_23
; %bb.4:                                ;   in Loop: Header=BB1_3 Depth=1
	s_mov_b32 s40, 0
	s_mov_b64 s[36:37], 0
	v_mov_b32_e32 v6, v28
	v_mov_b32_e32 v7, v29
	;; [unrolled: 1-line block ×3, first 2 shown]
	s_branch .LBB1_6
.LBB1_5:                                ;   in Loop: Header=BB1_6 Depth=2
	s_or_b64 exec, exec, s[28:29]
	v_add_u32_e32 v6, -4, v6
	s_add_i32 s28, s40, 8
	v_cmp_eq_u32_e32 vcc, 0, v6
	s_add_i32 s40, s41, 2
	v_add_u32_e32 v8, 0x1020, v8
	v_add_u32_e32 v7, 0x1020, v7
	s_or_b64 s[36:37], vcc, s[36:37]
	v_mov_b32_e32 v9, s28
	s_andn2_b64 exec, exec, s[36:37]
	s_cbranch_execz .LBB1_22
.LBB1_6:                                ;   Parent Loop BB1_3 Depth=1
                                        ; =>  This Inner Loop Header: Depth=2
	s_or_b32 s28, s40, 1
	v_cmp_le_u32_e32 vcc, s28, v1
	v_cmp_le_u32_e64 s[28:29], s40, v18
	s_and_saveexec_b64 s[38:39], s[28:29]
	s_cbranch_execz .LBB1_8
; %bb.7:                                ;   in Loop: Header=BB1_6 Depth=2
	ds_write_b32 v8, v31
.LBB1_8:                                ;   in Loop: Header=BB1_6 Depth=2
	s_or_b64 exec, exec, s[38:39]
	s_and_saveexec_b64 s[28:29], vcc
	s_cbranch_execz .LBB1_10
; %bb.9:                                ;   in Loop: Header=BB1_6 Depth=2
	ds_write_b32 v8, v31 offset:516
.LBB1_10:                               ;   in Loop: Header=BB1_6 Depth=2
	s_or_b64 exec, exec, s[28:29]
	s_add_i32 s41, s40, 2
	s_add_i32 s28, s40, 3
	v_cmp_le_u32_e32 vcc, s28, v1
	v_cmp_le_u32_e64 s[28:29], s41, v18
	s_and_saveexec_b64 s[38:39], s[28:29]
	s_cbranch_execz .LBB1_12
; %bb.11:                               ;   in Loop: Header=BB1_6 Depth=2
	ds_write_b32 v7, v31
.LBB1_12:                               ;   in Loop: Header=BB1_6 Depth=2
	s_or_b64 exec, exec, s[38:39]
	s_and_saveexec_b64 s[28:29], vcc
	s_cbranch_execz .LBB1_14
; %bb.13:                               ;   in Loop: Header=BB1_6 Depth=2
	ds_write_b32 v7, v31 offset:516
.LBB1_14:                               ;   in Loop: Header=BB1_6 Depth=2
	s_or_b64 exec, exec, s[28:29]
	s_add_i32 s42, s41, 2
	s_add_i32 s41, s41, 3
	v_cmp_le_u32_e32 vcc, s41, v1
	v_cmp_le_u32_e64 s[28:29], s42, v18
	s_and_saveexec_b64 s[38:39], s[28:29]
	s_cbranch_execz .LBB1_16
; %bb.15:                               ;   in Loop: Header=BB1_6 Depth=2
	ds_write_b32 v7, v31 offset:1032
.LBB1_16:                               ;   in Loop: Header=BB1_6 Depth=2
	s_or_b64 exec, exec, s[38:39]
	s_and_saveexec_b64 s[28:29], vcc
	s_cbranch_execz .LBB1_18
; %bb.17:                               ;   in Loop: Header=BB1_6 Depth=2
	ds_write_b32 v7, v31 offset:1548
.LBB1_18:                               ;   in Loop: Header=BB1_6 Depth=2
	s_or_b64 exec, exec, s[28:29]
	s_add_i32 s41, s42, 2
	s_add_i32 s42, s42, 3
	v_cmp_le_u32_e32 vcc, s42, v1
	v_cmp_le_u32_e64 s[28:29], s41, v18
	s_and_saveexec_b64 s[38:39], s[28:29]
	s_cbranch_execz .LBB1_20
; %bb.19:                               ;   in Loop: Header=BB1_6 Depth=2
	ds_write_b32 v7, v31 offset:2064
.LBB1_20:                               ;   in Loop: Header=BB1_6 Depth=2
	s_or_b64 exec, exec, s[38:39]
	s_and_saveexec_b64 s[28:29], vcc
	s_cbranch_execz .LBB1_5
; %bb.21:                               ;   in Loop: Header=BB1_6 Depth=2
	ds_write_b32 v7, v31 offset:2580
	s_branch .LBB1_5
.LBB1_22:                               ;   in Loop: Header=BB1_3 Depth=1
	s_or_b64 exec, exec, s[36:37]
.LBB1_23:                               ;   in Loop: Header=BB1_3 Depth=1
	s_or_b64 exec, exec, s[34:35]
	s_and_saveexec_b64 s[34:35], s[26:27]
	s_cbranch_execz .LBB1_30
; %bb.24:                               ;   in Loop: Header=BB1_3 Depth=1
	v_mad_u64_u32 v[6:7], s[28:29], v9, s33, v[16:17]
	s_mov_b64 s[36:37], 0
	v_mov_b32_e32 v7, v30
	s_branch .LBB1_26
.LBB1_25:                               ;   in Loop: Header=BB1_26 Depth=2
	s_or_b64 exec, exec, s[28:29]
	v_add_u32_e32 v7, 0xfffffdfc, v7
	v_cmp_eq_u32_e32 vcc, 0, v7
	v_add_u32_e32 v9, 2, v9
	s_or_b64 s[36:37], vcc, s[36:37]
	v_add_u32_e32 v6, 0x408, v6
	s_andn2_b64 exec, exec, s[36:37]
	s_cbranch_execz .LBB1_30
.LBB1_26:                               ;   Parent Loop BB1_3 Depth=1
                                        ; =>  This Inner Loop Header: Depth=2
	v_or_b32_e32 v8, 1, v9
	v_cmp_le_u32_e32 vcc, v8, v1
	v_cmp_le_u32_e64 s[28:29], v9, v18
	s_and_saveexec_b64 s[38:39], s[28:29]
	s_cbranch_execz .LBB1_28
; %bb.27:                               ;   in Loop: Header=BB1_26 Depth=2
	ds_write_b32 v6, v31
.LBB1_28:                               ;   in Loop: Header=BB1_26 Depth=2
	s_or_b64 exec, exec, s[38:39]
	s_and_saveexec_b64 s[28:29], vcc
	s_cbranch_execz .LBB1_25
; %bb.29:                               ;   in Loop: Header=BB1_26 Depth=2
	ds_write_b32 v6, v31 offset:516
	s_branch .LBB1_25
.LBB1_30:                               ;   in Loop: Header=BB1_3 Depth=1
	s_or_b64 exec, exec, s[34:35]
	s_sub_i32 s28, s31, s30
	s_min_u32 s37, s28, 4
	s_sub_i32 s36, 0, s30
	s_add_i32 s38, s37, s30
	s_cmp_lt_i32 s30, 32
	s_cselect_b64 s[28:29], -1, 0
	s_cmp_gt_i32 s38, 0
	s_cselect_b64 s[34:35], -1, 0
	s_and_b64 vcc, s[28:29], s[34:35]
	s_cmp_lt_i32 s30, 64
	s_cselect_b64 s[28:29], -1, 0
	s_cmp_gt_i32 s38, 32
	s_cselect_b64 s[34:35], -1, 0
	s_and_b64 s[28:29], s[28:29], s[34:35]
	s_max_i32 s34, s36, 0
	s_max_i32 s35, s30, 0
	s_add_i32 s36, s34, s30
	s_sub_i32 s36, s35, s36
	s_add_i32 s36, s36, s38
	s_min_i32 s36, s36, 32
	s_sub_i32 s36, s36, s35
	s_lshl_b32 s38, -1, s36
	s_not_b32 s38, s38
	s_cmp_lg_u32 s36, 32
	s_cselect_b32 s36, s38, -1
	s_max_i32 s39, s30, 32
	s_sub_i32 s38, 32, s30
	s_sub_i32 s39, s39, 32
	s_max_i32 s38, s38, 0
	s_add_i32 s37, s39, s37
	s_sub_i32 s37, s37, s38
	s_min_i32 s37, s37, 32
	s_sub_i32 s37, s37, s39
	s_lshl_b32 s40, -1, s37
	s_not_b32 s40, s40
	s_cmp_lg_u32 s37, 32
	s_cselect_b32 s37, s40, -1
	v_lshrrev_b32_e32 v6, s35, v23
	v_lshrrev_b32_e32 v7, s39, v22
	v_and_b32_e32 v6, s36, v6
	v_and_b32_e32 v7, s37, v7
	v_lshlrev_b32_e32 v6, s34, v6
	v_lshlrev_b32_e32 v7, s38, v7
	v_cndmask_b32_e32 v6, 0, v6, vcc
	v_cndmask_b32_e64 v7, 0, v7, s[28:29]
	v_or_b32_e32 v6, v6, v7
	v_and_b32_e32 v7, 7, v6
	v_mul_u32_u24_e32 v7, 0x81, v7
	v_lshrrev_b32_e32 v6, 3, v6
	v_add_lshl_u32 v7, v7, v0, 1
	v_add_lshl_u32 v34, v7, v6, 1
	ds_read_u16 v33, v34
	v_lshrrev_b32_e32 v7, s39, v20
	v_and_b32_e32 v7, s37, v7
	v_lshlrev_b32_e32 v7, s38, v7
	v_cndmask_b32_e64 v7, 0, v7, s[28:29]
	s_waitcnt lgkmcnt(0)
	v_add_u16_e32 v6, 1, v33
	ds_write_b16 v34, v6
	v_lshrrev_b32_e32 v6, s35, v21
	v_and_b32_e32 v6, s36, v6
	v_lshlrev_b32_e32 v6, s34, v6
	v_cndmask_b32_e32 v6, 0, v6, vcc
	v_or_b32_e32 v6, v6, v7
	v_and_b32_e32 v7, 7, v6
	v_mul_u32_u24_e32 v7, 0x81, v7
	v_lshrrev_b32_e32 v6, 3, v6
	v_add_lshl_u32 v7, v7, v0, 1
	v_add_lshl_u32 v36, v7, v6, 1
	ds_read_u16 v35, v36
	s_waitcnt lgkmcnt(0)
	v_add_u16_e32 v6, 1, v35
	ds_write_b16 v36, v6
	s_waitcnt lgkmcnt(0)
	s_barrier
	ds_read2_b64 v[10:13], v19 offset1:1
	ds_read2_b64 v[6:9], v19 offset0:2 offset1:3
	s_waitcnt lgkmcnt(1)
	v_add_u32_e32 v37, v11, v10
	v_add3_u32 v37, v37, v12, v13
	s_waitcnt lgkmcnt(0)
	v_add3_u32 v37, v37, v6, v7
	v_add3_u32 v9, v37, v8, v9
	s_nop 1
	v_mov_b32_dpp v37, v9 row_shr:1 row_mask:0xf bank_mask:0xf
	v_cndmask_b32_e64 v37, v37, 0, s[8:9]
	v_add_u32_e32 v9, v37, v9
	s_nop 1
	v_mov_b32_dpp v37, v9 row_shr:2 row_mask:0xf bank_mask:0xf
	v_cndmask_b32_e64 v37, 0, v37, s[10:11]
	v_add_u32_e32 v9, v9, v37
	;; [unrolled: 4-line block ×4, first 2 shown]
	s_nop 1
	v_mov_b32_dpp v37, v9 row_bcast:15 row_mask:0xf bank_mask:0xf
	v_cndmask_b32_e64 v37, v37, 0, s[16:17]
	v_add_u32_e32 v9, v9, v37
	s_nop 1
	v_mov_b32_dpp v37, v9 row_bcast:31 row_mask:0xf bank_mask:0xf
	v_cndmask_b32_e64 v37, 0, v37, s[4:5]
	v_add_u32_e32 v9, v9, v37
	s_and_saveexec_b64 s[28:29], s[22:23]
	s_cbranch_execz .LBB1_32
; %bb.31:                               ;   in Loop: Header=BB1_3 Depth=1
	ds_write_b32 v25, v9 offset:4128
.LBB1_32:                               ;   in Loop: Header=BB1_3 Depth=1
	s_or_b64 exec, exec, s[28:29]
	s_waitcnt lgkmcnt(0)
	s_barrier
	s_and_saveexec_b64 s[28:29], s[0:1]
	s_cbranch_execz .LBB1_34
; %bb.33:                               ;   in Loop: Header=BB1_3 Depth=1
	ds_read_b32 v37, v24 offset:4128
	s_waitcnt lgkmcnt(0)
	s_nop 0
	v_mov_b32_dpp v38, v37 row_shr:1 row_mask:0xf bank_mask:0xf
	v_cndmask_b32_e64 v38, v38, 0, s[18:19]
	v_add_u32_e32 v37, v38, v37
	s_nop 1
	v_mov_b32_dpp v38, v37 row_shr:2 row_mask:0xf bank_mask:0xf
	v_cndmask_b32_e64 v38, 0, v38, s[20:21]
	v_add_u32_e32 v37, v37, v38
	ds_write_b32 v24, v37 offset:4128
.LBB1_34:                               ;   in Loop: Header=BB1_3 Depth=1
	s_or_b64 exec, exec, s[28:29]
	v_mov_b32_e32 v37, 0
	s_waitcnt lgkmcnt(0)
	s_barrier
	s_and_saveexec_b64 s[28:29], s[2:3]
	s_cbranch_execz .LBB1_36
; %bb.35:                               ;   in Loop: Header=BB1_3 Depth=1
	ds_read_b32 v37, v25 offset:4124
.LBB1_36:                               ;   in Loop: Header=BB1_3 Depth=1
	s_or_b64 exec, exec, s[28:29]
	s_waitcnt lgkmcnt(0)
	v_add_u32_e32 v9, v37, v9
	ds_bpermute_b32 v9, v26, v9
	ds_read_b32 v38, v31 offset:4136
	s_add_i32 s30, s30, 4
	s_cmp_ge_u32 s30, s31
	s_waitcnt lgkmcnt(1)
	v_cndmask_b32_e64 v9, v9, v37, s[6:7]
	s_waitcnt lgkmcnt(0)
	v_lshl_add_u32 v38, v38, 16, v9
	v_add_u32_e32 v39, v38, v10
	v_add_u32_e32 v10, v39, v11
	v_add_u32_e32 v11, v10, v12
	v_add_u32_e32 v12, v11, v13
	v_add_u32_e32 v13, v12, v6
	v_add_u32_e32 v6, v13, v7
	v_add_u32_e32 v7, v6, v8
	ds_write2_b64 v19, v[38:39], v[10:11] offset1:1
	ds_write2_b64 v19, v[12:13], v[6:7] offset0:2 offset1:3
	s_waitcnt lgkmcnt(0)
	s_barrier
	ds_read_u16 v6, v34
	ds_read_u16 v7, v36
	v_lshlrev_b32_sdwa v8, v32, v33 dst_sel:DWORD dst_unused:UNUSED_PAD src0_sel:DWORD src1_sel:WORD_0
	s_waitcnt lgkmcnt(0)
	v_lshl_add_u32 v10, v6, 3, v8
	v_lshlrev_b32_sdwa v6, v32, v35 dst_sel:DWORD dst_unused:UNUSED_PAD src0_sel:DWORD src1_sel:WORD_0
	v_lshl_add_u32 v11, v7, 3, v6
	s_cbranch_scc0 .LBB1_2
; %bb.37:
                                        ; implicit-def: $vgpr6_vgpr7
.LBB1_38:
	s_mov_b64 s[28:29], 0
	s_barrier
	ds_write_b64 v10, v[22:23]
	ds_write_b64 v11, v[20:21]
	s_waitcnt lgkmcnt(0)
	s_barrier
.LBB1_39:
	s_and_b64 vcc, exec, s[28:29]
	s_cbranch_vccz .LBB1_78
; %bb.40:
	v_add_u32_e32 v6, 1, v27
	v_and_b32_e32 v7, 3, v6
	v_and_b32_e32 v20, 12, v6
	v_mov_b32_e32 v6, 0x408
	v_mov_b32_e32 v1, v18
	v_cmp_lt_u32_e64 s[24:25], 5, v18
	s_mov_b32 s38, 0
	v_cmp_ne_u32_e64 s[26:27], 0, v7
	v_lshl_add_u32 v21, v0, 2, v6
	s_movk_i32 s33, 0x204
	v_mul_u32_u24_e32 v22, 0x204, v7
	v_mov_b32_e32 v23, 0
	v_mov_b32_e32 v27, 3
	s_branch .LBB1_42
.LBB1_41:                               ;   in Loop: Header=BB1_42 Depth=1
	v_add_u32_e32 v2, v24, v17
	s_barrier
	ds_write_b64 v6, v[12:13]
	ds_write_b64 v7, v[10:11]
	s_waitcnt lgkmcnt(0)
	s_barrier
	ds_read2_b64 v[2:5], v2 offset1:1
	s_waitcnt lgkmcnt(0)
	s_barrier
	s_mov_b32 s38, s30
	s_cbranch_execz .LBB1_77
.LBB1_42:                               ; =>This Loop Header: Depth=1
                                        ;     Child Loop BB1_45 Depth 2
                                        ;     Child Loop BB1_65 Depth 2
	v_pk_mov_b32 v[12:13], v[2:3], v[2:3] op_sel:[0,1]
	v_pk_mov_b32 v[10:11], v[4:5], v[4:5] op_sel:[0,1]
	v_mov_b32_e32 v5, 0
	s_and_saveexec_b64 s[30:31], s[24:25]
	s_cbranch_execz .LBB1_62
; %bb.43:                               ;   in Loop: Header=BB1_42 Depth=1
	s_mov_b32 s39, 0
	s_mov_b64 s[34:35], 0
	v_mov_b32_e32 v2, v20
	v_mov_b32_e32 v3, v21
	;; [unrolled: 1-line block ×3, first 2 shown]
	s_branch .LBB1_45
.LBB1_44:                               ;   in Loop: Header=BB1_45 Depth=2
	s_or_b64 exec, exec, s[28:29]
	v_add_u32_e32 v2, -4, v2
	s_add_i32 s28, s39, 8
	v_cmp_eq_u32_e32 vcc, 0, v2
	s_add_i32 s39, s40, 2
	v_add_u32_e32 v4, 0x1020, v4
	v_add_u32_e32 v3, 0x1020, v3
	s_or_b64 s[34:35], vcc, s[34:35]
	v_mov_b32_e32 v5, s28
	s_andn2_b64 exec, exec, s[34:35]
	s_cbranch_execz .LBB1_61
.LBB1_45:                               ;   Parent Loop BB1_42 Depth=1
                                        ; =>  This Inner Loop Header: Depth=2
	s_or_b32 s28, s39, 1
	v_cmp_le_u32_e32 vcc, s28, v1
	v_cmp_le_u32_e64 s[28:29], s39, v18
	s_and_saveexec_b64 s[36:37], s[28:29]
	s_cbranch_execz .LBB1_47
; %bb.46:                               ;   in Loop: Header=BB1_45 Depth=2
	ds_write_b32 v4, v23
.LBB1_47:                               ;   in Loop: Header=BB1_45 Depth=2
	s_or_b64 exec, exec, s[36:37]
	s_and_saveexec_b64 s[28:29], vcc
	s_cbranch_execz .LBB1_49
; %bb.48:                               ;   in Loop: Header=BB1_45 Depth=2
	ds_write_b32 v4, v23 offset:516
.LBB1_49:                               ;   in Loop: Header=BB1_45 Depth=2
	s_or_b64 exec, exec, s[28:29]
	s_add_i32 s40, s39, 2
	s_add_i32 s28, s39, 3
	v_cmp_le_u32_e32 vcc, s28, v1
	v_cmp_le_u32_e64 s[28:29], s40, v18
	s_and_saveexec_b64 s[36:37], s[28:29]
	s_cbranch_execz .LBB1_51
; %bb.50:                               ;   in Loop: Header=BB1_45 Depth=2
	ds_write_b32 v3, v23
.LBB1_51:                               ;   in Loop: Header=BB1_45 Depth=2
	s_or_b64 exec, exec, s[36:37]
	s_and_saveexec_b64 s[28:29], vcc
	s_cbranch_execz .LBB1_53
; %bb.52:                               ;   in Loop: Header=BB1_45 Depth=2
	ds_write_b32 v3, v23 offset:516
.LBB1_53:                               ;   in Loop: Header=BB1_45 Depth=2
	s_or_b64 exec, exec, s[28:29]
	s_add_i32 s41, s40, 2
	s_add_i32 s40, s40, 3
	v_cmp_le_u32_e32 vcc, s40, v1
	v_cmp_le_u32_e64 s[28:29], s41, v18
	s_and_saveexec_b64 s[36:37], s[28:29]
	s_cbranch_execz .LBB1_55
; %bb.54:                               ;   in Loop: Header=BB1_45 Depth=2
	ds_write_b32 v3, v23 offset:1032
.LBB1_55:                               ;   in Loop: Header=BB1_45 Depth=2
	s_or_b64 exec, exec, s[36:37]
	s_and_saveexec_b64 s[28:29], vcc
	s_cbranch_execz .LBB1_57
; %bb.56:                               ;   in Loop: Header=BB1_45 Depth=2
	ds_write_b32 v3, v23 offset:1548
.LBB1_57:                               ;   in Loop: Header=BB1_45 Depth=2
	s_or_b64 exec, exec, s[28:29]
	s_add_i32 s40, s41, 2
	s_add_i32 s41, s41, 3
	v_cmp_le_u32_e32 vcc, s41, v1
	v_cmp_le_u32_e64 s[28:29], s40, v18
	s_and_saveexec_b64 s[36:37], s[28:29]
	s_cbranch_execz .LBB1_59
; %bb.58:                               ;   in Loop: Header=BB1_45 Depth=2
	ds_write_b32 v3, v23 offset:2064
.LBB1_59:                               ;   in Loop: Header=BB1_45 Depth=2
	s_or_b64 exec, exec, s[36:37]
	s_and_saveexec_b64 s[28:29], vcc
	s_cbranch_execz .LBB1_44
; %bb.60:                               ;   in Loop: Header=BB1_45 Depth=2
	ds_write_b32 v3, v23 offset:2580
	s_branch .LBB1_44
.LBB1_61:                               ;   in Loop: Header=BB1_42 Depth=1
	s_or_b64 exec, exec, s[34:35]
.LBB1_62:                               ;   in Loop: Header=BB1_42 Depth=1
	s_or_b64 exec, exec, s[30:31]
	s_and_saveexec_b64 s[30:31], s[26:27]
	s_cbranch_execz .LBB1_69
; %bb.63:                               ;   in Loop: Header=BB1_42 Depth=1
	v_mad_u64_u32 v[2:3], s[28:29], v5, s33, v[16:17]
	s_mov_b64 s[34:35], 0
	v_mov_b32_e32 v3, v22
	s_branch .LBB1_65
.LBB1_64:                               ;   in Loop: Header=BB1_65 Depth=2
	s_or_b64 exec, exec, s[28:29]
	v_add_u32_e32 v3, 0xfffffdfc, v3
	v_cmp_eq_u32_e32 vcc, 0, v3
	v_add_u32_e32 v5, 2, v5
	s_or_b64 s[34:35], vcc, s[34:35]
	v_add_u32_e32 v2, 0x408, v2
	s_andn2_b64 exec, exec, s[34:35]
	s_cbranch_execz .LBB1_69
.LBB1_65:                               ;   Parent Loop BB1_42 Depth=1
                                        ; =>  This Inner Loop Header: Depth=2
	v_or_b32_e32 v4, 1, v5
	v_cmp_le_u32_e32 vcc, v4, v1
	v_cmp_le_u32_e64 s[28:29], v5, v18
	s_and_saveexec_b64 s[36:37], s[28:29]
	s_cbranch_execz .LBB1_67
; %bb.66:                               ;   in Loop: Header=BB1_65 Depth=2
	ds_write_b32 v2, v23
.LBB1_67:                               ;   in Loop: Header=BB1_65 Depth=2
	s_or_b64 exec, exec, s[36:37]
	s_and_saveexec_b64 s[28:29], vcc
	s_cbranch_execz .LBB1_64
; %bb.68:                               ;   in Loop: Header=BB1_65 Depth=2
	ds_write_b32 v2, v23 offset:516
	s_branch .LBB1_64
.LBB1_69:                               ;   in Loop: Header=BB1_42 Depth=1
	s_or_b64 exec, exec, s[30:31]
	s_add_i32 s30, s38, 4
	s_cmp_lt_u32 s38, 32
	s_cselect_b64 vcc, -1, 0
	s_cmp_gt_u32 s38, 28
	s_cselect_b64 s[28:29], -1, 0
	s_min_i32 s31, s30, 32
	s_sub_i32 s31, s31, s38
	s_lshl_b32 s34, -1, s31
	s_not_b32 s34, s34
	s_cmp_lg_u32 s31, 32
	s_cselect_b32 s31, s34, -1
	s_sub_i32 s34, 32, s38
	s_max_i32 s34, s34, 0
	s_max_i32 s35, s38, 32
	s_sub_i32 s36, s35, 32
	s_sub_i32 s35, s35, s34
	;; [unrolled: 1-line block ×3, first 2 shown]
	s_min_i32 s35, s35, 32
	s_sub_i32 s35, s35, s36
	s_lshl_b32 s37, -1, s35
	s_not_b32 s37, s37
	s_cmp_lg_u32 s35, 32
	s_cselect_b32 s35, s37, -1
	v_lshrrev_b32_e32 v3, s36, v12
	v_lshrrev_b32_e32 v2, s38, v13
	v_and_b32_e32 v3, s35, v3
	v_and_b32_e32 v2, s31, v2
	v_lshlrev_b32_e32 v3, s34, v3
	v_cndmask_b32_e32 v2, 0, v2, vcc
	v_cndmask_b32_e64 v3, 0, v3, s[28:29]
	v_or_b32_e32 v2, v2, v3
	v_and_b32_e32 v3, 7, v2
	v_mul_u32_u24_e32 v3, 0x81, v3
	v_lshrrev_b32_e32 v2, 3, v2
	v_add_lshl_u32 v3, v3, v0, 1
	v_add_lshl_u32 v29, v3, v2, 1
	ds_read_u16 v28, v29
	v_lshrrev_b32_e32 v3, s36, v10
	v_and_b32_e32 v3, s35, v3
	v_lshlrev_b32_e32 v3, s34, v3
	v_cndmask_b32_e64 v3, 0, v3, s[28:29]
	s_waitcnt lgkmcnt(0)
	v_add_u16_e32 v2, 1, v28
	ds_write_b16 v29, v2
	v_lshrrev_b32_e32 v2, s38, v11
	v_and_b32_e32 v2, s31, v2
	v_cndmask_b32_e32 v2, 0, v2, vcc
	v_or_b32_e32 v2, v2, v3
	v_and_b32_e32 v3, 7, v2
	v_mul_u32_u24_e32 v3, 0x81, v3
	v_lshrrev_b32_e32 v2, 3, v2
	v_add_lshl_u32 v3, v3, v0, 1
	v_add_lshl_u32 v31, v3, v2, 1
	ds_read_u16 v30, v31
	s_waitcnt lgkmcnt(0)
	v_add_u16_e32 v2, 1, v30
	ds_write_b16 v31, v2
	s_waitcnt lgkmcnt(0)
	s_barrier
	ds_read2_b64 v[6:9], v19 offset1:1
	ds_read2_b64 v[2:5], v19 offset0:2 offset1:3
	s_waitcnt lgkmcnt(1)
	v_add_u32_e32 v32, v7, v6
	v_add3_u32 v32, v32, v8, v9
	s_waitcnt lgkmcnt(0)
	v_add3_u32 v32, v32, v2, v3
	v_add3_u32 v5, v32, v4, v5
	s_nop 1
	v_mov_b32_dpp v32, v5 row_shr:1 row_mask:0xf bank_mask:0xf
	v_cndmask_b32_e64 v32, v32, 0, s[8:9]
	v_add_u32_e32 v5, v32, v5
	s_nop 1
	v_mov_b32_dpp v32, v5 row_shr:2 row_mask:0xf bank_mask:0xf
	v_cndmask_b32_e64 v32, 0, v32, s[10:11]
	v_add_u32_e32 v5, v5, v32
	;; [unrolled: 4-line block ×4, first 2 shown]
	s_nop 1
	v_mov_b32_dpp v32, v5 row_bcast:15 row_mask:0xf bank_mask:0xf
	v_cndmask_b32_e64 v32, v32, 0, s[16:17]
	v_add_u32_e32 v5, v5, v32
	s_nop 1
	v_mov_b32_dpp v32, v5 row_bcast:31 row_mask:0xf bank_mask:0xf
	v_cndmask_b32_e64 v32, 0, v32, s[4:5]
	v_add_u32_e32 v5, v5, v32
	s_and_saveexec_b64 s[28:29], s[22:23]
	s_cbranch_execz .LBB1_71
; %bb.70:                               ;   in Loop: Header=BB1_42 Depth=1
	ds_write_b32 v25, v5 offset:4128
.LBB1_71:                               ;   in Loop: Header=BB1_42 Depth=1
	s_or_b64 exec, exec, s[28:29]
	s_waitcnt lgkmcnt(0)
	s_barrier
	s_and_saveexec_b64 s[28:29], s[0:1]
	s_cbranch_execz .LBB1_73
; %bb.72:                               ;   in Loop: Header=BB1_42 Depth=1
	ds_read_b32 v32, v24 offset:4128
	s_waitcnt lgkmcnt(0)
	s_nop 0
	v_mov_b32_dpp v33, v32 row_shr:1 row_mask:0xf bank_mask:0xf
	v_cndmask_b32_e64 v33, v33, 0, s[18:19]
	v_add_u32_e32 v32, v33, v32
	s_nop 1
	v_mov_b32_dpp v33, v32 row_shr:2 row_mask:0xf bank_mask:0xf
	v_cndmask_b32_e64 v33, 0, v33, s[20:21]
	v_add_u32_e32 v32, v32, v33
	ds_write_b32 v24, v32 offset:4128
.LBB1_73:                               ;   in Loop: Header=BB1_42 Depth=1
	s_or_b64 exec, exec, s[28:29]
	v_mov_b32_e32 v32, 0
	s_waitcnt lgkmcnt(0)
	s_barrier
	s_and_saveexec_b64 s[28:29], s[2:3]
	s_cbranch_execz .LBB1_75
; %bb.74:                               ;   in Loop: Header=BB1_42 Depth=1
	ds_read_b32 v32, v25 offset:4124
.LBB1_75:                               ;   in Loop: Header=BB1_42 Depth=1
	s_or_b64 exec, exec, s[28:29]
	s_waitcnt lgkmcnt(0)
	v_add_u32_e32 v5, v32, v5
	ds_bpermute_b32 v5, v26, v5
	ds_read_b32 v33, v23 offset:4136
	s_cmp_gt_u32 s38, 59
	s_waitcnt lgkmcnt(1)
	v_cndmask_b32_e64 v5, v5, v32, s[6:7]
	s_waitcnt lgkmcnt(0)
	v_lshl_add_u32 v32, v33, 16, v5
	v_add_u32_e32 v33, v32, v6
	v_add_u32_e32 v6, v33, v7
	v_add_u32_e32 v7, v6, v8
	v_add_u32_e32 v8, v7, v9
	v_add_u32_e32 v9, v8, v2
	v_add_u32_e32 v2, v9, v3
	v_add_u32_e32 v3, v2, v4
	ds_write2_b64 v19, v[32:33], v[6:7] offset1:1
	ds_write2_b64 v19, v[8:9], v[2:3] offset0:2 offset1:3
	s_waitcnt lgkmcnt(0)
	s_barrier
	ds_read_u16 v2, v29
	ds_read_u16 v3, v31
	v_lshlrev_b32_sdwa v4, v27, v28 dst_sel:DWORD dst_unused:UNUSED_PAD src0_sel:DWORD src1_sel:WORD_0
	s_waitcnt lgkmcnt(0)
	v_lshl_add_u32 v6, v2, 3, v4
	v_lshlrev_b32_sdwa v2, v27, v30 dst_sel:DWORD dst_unused:UNUSED_PAD src0_sel:DWORD src1_sel:WORD_0
	v_lshl_add_u32 v7, v3, 3, v2
	s_cbranch_scc0 .LBB1_41
; %bb.76:
                                        ; implicit-def: $vgpr2_vgpr3
                                        ; implicit-def: $sgpr30
	s_mov_b32 s38, s30
.LBB1_77:
	s_barrier
	ds_write_b64 v6, v[12:13]
	ds_write_b64 v7, v[10:11]
	s_waitcnt lgkmcnt(0)
	s_barrier
.LBB1_78:
	v_add_u32_e32 v0, v24, v17
	ds_read2_b64 v[0:3], v0 offset1:1
	v_bfrev_b32_e32 v4, -2
	s_waitcnt lgkmcnt(0)
	v_cmp_gt_i32_e32 vcc, 0, v0
	v_cndmask_b32_e64 v5, v4, 0, vcc
	v_cmp_gt_i32_e32 vcc, 0, v1
	v_cndmask_b32_e64 v6, v4, 0, vcc
	v_cmp_gt_i32_e32 vcc, 0, v2
	v_xor_b32_e32 v0, v5, v0
	v_cndmask_b32_e64 v5, v4, 0, vcc
	v_cmp_gt_i32_e32 vcc, 0, v3
	v_cndmask_b32_e64 v4, v4, 0, vcc
	v_xor_b32_e32 v1, v6, v1
	v_xor_b32_e32 v3, v4, v3
	;; [unrolled: 1-line block ×3, first 2 shown]
	global_store_dwordx4 v[14:15], v[0:3], off
	s_endpgm
	.section	.rodata,"a",@progbits
	.p2align	6, 0x0
	.amdhsa_kernel _Z15sort_key_kernelILj129ELj2ELb0ELb1EN10test_utils16custom_test_typeIfEEEvPT3_jj
		.amdhsa_group_segment_fixed_size 4144
		.amdhsa_private_segment_fixed_size 0
		.amdhsa_kernarg_size 16
		.amdhsa_user_sgpr_count 6
		.amdhsa_user_sgpr_private_segment_buffer 1
		.amdhsa_user_sgpr_dispatch_ptr 0
		.amdhsa_user_sgpr_queue_ptr 0
		.amdhsa_user_sgpr_kernarg_segment_ptr 1
		.amdhsa_user_sgpr_dispatch_id 0
		.amdhsa_user_sgpr_flat_scratch_init 0
		.amdhsa_user_sgpr_kernarg_preload_length 0
		.amdhsa_user_sgpr_kernarg_preload_offset 0
		.amdhsa_user_sgpr_private_segment_size 0
		.amdhsa_uses_dynamic_stack 0
		.amdhsa_system_sgpr_private_segment_wavefront_offset 0
		.amdhsa_system_sgpr_workgroup_id_x 1
		.amdhsa_system_sgpr_workgroup_id_y 0
		.amdhsa_system_sgpr_workgroup_id_z 0
		.amdhsa_system_sgpr_workgroup_info 0
		.amdhsa_system_vgpr_workitem_id 0
		.amdhsa_next_free_vgpr 40
		.amdhsa_next_free_sgpr 43
		.amdhsa_accum_offset 40
		.amdhsa_reserve_vcc 1
		.amdhsa_reserve_flat_scratch 0
		.amdhsa_float_round_mode_32 0
		.amdhsa_float_round_mode_16_64 0
		.amdhsa_float_denorm_mode_32 3
		.amdhsa_float_denorm_mode_16_64 3
		.amdhsa_dx10_clamp 1
		.amdhsa_ieee_mode 1
		.amdhsa_fp16_overflow 0
		.amdhsa_tg_split 0
		.amdhsa_exception_fp_ieee_invalid_op 0
		.amdhsa_exception_fp_denorm_src 0
		.amdhsa_exception_fp_ieee_div_zero 0
		.amdhsa_exception_fp_ieee_overflow 0
		.amdhsa_exception_fp_ieee_underflow 0
		.amdhsa_exception_fp_ieee_inexact 0
		.amdhsa_exception_int_div_zero 0
	.end_amdhsa_kernel
	.section	.text._Z15sort_key_kernelILj129ELj2ELb0ELb1EN10test_utils16custom_test_typeIfEEEvPT3_jj,"axG",@progbits,_Z15sort_key_kernelILj129ELj2ELb0ELb1EN10test_utils16custom_test_typeIfEEEvPT3_jj,comdat
.Lfunc_end1:
	.size	_Z15sort_key_kernelILj129ELj2ELb0ELb1EN10test_utils16custom_test_typeIfEEEvPT3_jj, .Lfunc_end1-_Z15sort_key_kernelILj129ELj2ELb0ELb1EN10test_utils16custom_test_typeIfEEEvPT3_jj
                                        ; -- End function
	.section	.AMDGPU.csdata,"",@progbits
; Kernel info:
; codeLenInByte = 3464
; NumSgprs: 47
; NumVgprs: 40
; NumAgprs: 0
; TotalNumVgprs: 40
; ScratchSize: 0
; MemoryBound: 0
; FloatMode: 240
; IeeeMode: 1
; LDSByteSize: 4144 bytes/workgroup (compile time only)
; SGPRBlocks: 5
; VGPRBlocks: 4
; NumSGPRsForWavesPerEU: 47
; NumVGPRsForWavesPerEU: 40
; AccumOffset: 40
; Occupancy: 8
; WaveLimiterHint : 0
; COMPUTE_PGM_RSRC2:SCRATCH_EN: 0
; COMPUTE_PGM_RSRC2:USER_SGPR: 6
; COMPUTE_PGM_RSRC2:TRAP_HANDLER: 0
; COMPUTE_PGM_RSRC2:TGID_X_EN: 1
; COMPUTE_PGM_RSRC2:TGID_Y_EN: 0
; COMPUTE_PGM_RSRC2:TGID_Z_EN: 0
; COMPUTE_PGM_RSRC2:TIDIG_COMP_CNT: 0
; COMPUTE_PGM_RSRC3_GFX90A:ACCUM_OFFSET: 9
; COMPUTE_PGM_RSRC3_GFX90A:TG_SPLIT: 0
	.section	.text._Z15sort_key_kernelILj128ELj4ELb0ELb0EN10test_utils16custom_test_typeIsEEEvPT3_jj,"axG",@progbits,_Z15sort_key_kernelILj128ELj4ELb0ELb0EN10test_utils16custom_test_typeIsEEEvPT3_jj,comdat
	.protected	_Z15sort_key_kernelILj128ELj4ELb0ELb0EN10test_utils16custom_test_typeIsEEEvPT3_jj ; -- Begin function _Z15sort_key_kernelILj128ELj4ELb0ELb0EN10test_utils16custom_test_typeIsEEEvPT3_jj
	.globl	_Z15sort_key_kernelILj128ELj4ELb0ELb0EN10test_utils16custom_test_typeIsEEEvPT3_jj
	.p2align	8
	.type	_Z15sort_key_kernelILj128ELj4ELb0ELb0EN10test_utils16custom_test_typeIsEEEvPT3_jj,@function
_Z15sort_key_kernelILj128ELj4ELb0ELb0EN10test_utils16custom_test_typeIsEEEvPT3_jj: ; @_Z15sort_key_kernelILj128ELj4ELb0ELb0EN10test_utils16custom_test_typeIsEEEvPT3_jj
; %bb.0:
	s_load_dwordx4 s[40:43], s[4:5], 0x0
	s_mov_b32 s46, 0
	s_lshl_b32 s0, s6, 9
	s_mov_b32 s1, s46
	s_lshl_b64 s[0:1], s[0:1], 2
	v_and_b32_e32 v4, 0x3ff, v0
	s_waitcnt lgkmcnt(0)
	s_add_u32 s44, s40, s0
	s_addc_u32 s45, s41, s1
	v_lshlrev_b32_e32 v19, 4, v4
	global_load_dwordx4 v[22:25], v19, s[44:45]
	v_mbcnt_lo_u32_b32 v1, -1, 0
	v_mbcnt_hi_u32_b32 v5, -1, v1
	s_cmp_lg_u32 s42, 0
	v_bfe_u32 v17, v0, 10, 10
	v_bfe_u32 v18, v0, 20, 10
	v_lshrrev_b32_e32 v0, 2, v5
	v_and_b32_e32 v9, 64, v5
	s_cselect_b64 s[22:23], -1, 0
	s_cmp_lg_u32 s43, 32
	s_movk_i32 s21, 0x8000
	v_and_b32_e32 v1, 3, v5
	v_or_b32_e32 v2, v0, v9
	s_cselect_b64 s[24:25], -1, 0
	v_lshlrev_b32_e32 v13, 2, v4
	v_cmp_eq_u32_e64 s[0:1], 0, v1
	v_cmp_eq_u32_e64 s[2:3], 1, v1
	;; [unrolled: 1-line block ×4, first 2 shown]
	v_add_u32_e32 v20, 48, v0
	v_lshlrev_b32_e32 v21, 2, v2
	s_or_b64 s[22:23], s[22:23], s[24:25]
	s_mov_b32 s20, 0xffff
	v_and_b32_e32 v14, 15, v5
	v_and_b32_e32 v15, 16, v5
	v_cmp_lt_u32_e64 s[10:11], 31, v5
	v_cmp_gt_u32_e64 s[12:13], 2, v4
	v_cmp_lt_u32_e64 s[14:15], 63, v4
	v_add_u32_e32 v10, -1, v5
	v_cmp_eq_u32_e64 s[16:17], 0, v5
	v_cmp_eq_u32_e64 s[18:19], 0, v4
	v_lshrrev_b32_e32 v16, 4, v4
	v_mul_i32_i24_e32 v8, -12, v4
	v_and_b32_e32 v11, 1, v5
	v_lshlrev_b32_e32 v12, 2, v13
	v_add_u32_e32 v26, 64, v21
	v_mov_b32_e32 v27, s45
	s_and_b64 vcc, exec, s[22:23]
	s_waitcnt vmcnt(0)
	v_xor_b32_e32 v0, 0xffff8000, v22
	v_xor_b32_sdwa v1, v22, s21 dst_sel:WORD_1 dst_unused:UNUSED_PAD src0_sel:WORD_1 src1_sel:DWORD
	v_xor_b32_e32 v2, 0xffff8000, v23
	v_xor_b32_sdwa v3, v23, s21 dst_sel:WORD_1 dst_unused:UNUSED_PAD src0_sel:WORD_1 src1_sel:DWORD
	;; [unrolled: 2-line block ×4, first 2 shown]
	v_or_b32_sdwa v22, v1, v0 dst_sel:DWORD dst_unused:UNUSED_PAD src0_sel:DWORD src1_sel:WORD_0
	v_or_b32_sdwa v23, v3, v2 dst_sel:DWORD dst_unused:UNUSED_PAD src0_sel:DWORD src1_sel:WORD_0
	;; [unrolled: 1-line block ×4, first 2 shown]
	s_cbranch_vccz .LBB2_20
; %bb.1:
	ds_bpermute_b32 v0, v21, v22
	ds_bpermute_b32 v1, v21, v23
	ds_bpermute_b32 v2, v21, v24
	ds_bpermute_b32 v7, v26, v24
	s_waitcnt lgkmcnt(0)
	v_and_b32_e32 v3, 0xffff0000, v0
	v_cndmask_b32_e64 v0, 0, v0, s[0:1]
	v_and_b32_e32 v6, 0xffff0000, v1
	v_cndmask_b32_e64 v0, v0, v1, s[2:3]
	ds_bpermute_b32 v1, v21, v25
	v_cndmask_b32_e64 v3, 0, v3, s[0:1]
	v_cndmask_b32_e64 v3, v3, v6, s[2:3]
	v_and_b32_e32 v6, 0xffff0000, v2
	v_cndmask_b32_e64 v0, v0, v2, s[8:9]
	ds_bpermute_b32 v2, v26, v22
	v_cndmask_b32_e64 v3, v3, v6, s[8:9]
	s_waitcnt lgkmcnt(1)
	v_and_b32_e32 v6, 0xffff0000, v1
	v_cndmask_b32_e64 v0, v0, v1, s[6:7]
	ds_bpermute_b32 v1, v26, v23
	v_cndmask_b32_e64 v3, v3, v6, s[6:7]
	s_waitcnt lgkmcnt(1)
	v_and_b32_e32 v6, 0xffff0000, v2
	v_cndmask_b32_e64 v6, 0, v6, s[0:1]
	v_cndmask_b32_e64 v2, 0, v2, s[0:1]
	s_waitcnt lgkmcnt(0)
	v_and_b32_e32 v28, 0xffff0000, v1
	v_cndmask_b32_e64 v6, v6, v28, s[2:3]
	ds_bpermute_b32 v28, v26, v25
	v_cndmask_b32_e64 v1, v2, v1, s[2:3]
	v_and_b32_e32 v2, 0xffff0000, v7
	v_cndmask_b32_e64 v2, v6, v2, s[8:9]
	v_xor_b32_e32 v6, 0x80, v21
	v_cndmask_b32_e64 v1, v1, v7, s[8:9]
	ds_bpermute_b32 v7, v6, v22
	s_waitcnt lgkmcnt(1)
	v_and_b32_e32 v29, 0xffff0000, v28
	v_cndmask_b32_e64 v1, v1, v28, s[6:7]
	ds_bpermute_b32 v28, v6, v23
	ds_bpermute_b32 v30, v6, v24
	v_cndmask_b32_e64 v2, v2, v29, s[6:7]
	s_waitcnt lgkmcnt(2)
	v_and_b32_e32 v29, 0xffff0000, v7
	v_cndmask_b32_e64 v29, 0, v29, s[0:1]
	v_cndmask_b32_e64 v7, 0, v7, s[0:1]
	s_waitcnt lgkmcnt(1)
	v_and_b32_e32 v31, 0xffff0000, v28
	ds_bpermute_b32 v6, v6, v25
	v_cndmask_b32_e64 v29, v29, v31, s[2:3]
	v_cndmask_b32_e64 v7, v7, v28, s[2:3]
	s_waitcnt lgkmcnt(1)
	v_and_b32_e32 v28, 0xffff0000, v30
	v_cndmask_b32_e64 v28, v29, v28, s[8:9]
	v_and_or_b32 v29, v20, 63, v9
	v_lshlrev_b32_e32 v29, 2, v29
	v_cndmask_b32_e64 v7, v7, v30, s[8:9]
	ds_bpermute_b32 v30, v29, v22
	s_waitcnt lgkmcnt(1)
	v_and_b32_e32 v31, 0xffff0000, v6
	v_cndmask_b32_e64 v6, v7, v6, s[6:7]
	ds_bpermute_b32 v7, v29, v23
	ds_bpermute_b32 v32, v29, v24
	;; [unrolled: 1-line block ×3, first 2 shown]
	v_cndmask_b32_e64 v28, v28, v31, s[6:7]
	s_waitcnt lgkmcnt(3)
	v_and_b32_e32 v31, 0xffff0000, v30
	s_barrier
	s_waitcnt lgkmcnt(0)
	s_load_dword s21, s[4:5], 0x1c
	v_cndmask_b32_e64 v31, 0, v31, s[0:1]
	v_cndmask_b32_e64 v30, 0, v30, s[0:1]
	v_and_b32_e32 v33, 0xffff0000, v7
	v_cndmask_b32_e64 v31, v31, v33, s[2:3]
	v_cndmask_b32_e64 v7, v30, v7, s[2:3]
	v_and_b32_e32 v30, 0xffff0000, v32
	;; [unrolled: 3-line block ×3, first 2 shown]
	v_cndmask_b32_e64 v30, v30, v31, s[6:7]
	v_cndmask_b32_e64 v7, v7, v29, s[6:7]
	v_and_or_b32 v0, v0, s20, v3
	v_and_or_b32 v1, v1, s20, v2
	;; [unrolled: 1-line block ×4, first 2 shown]
	s_waitcnt lgkmcnt(0)
	s_lshr_b32 s20, s21, 16
	s_and_b32 s21, s21, 0xffff
	v_mad_u32_u24 v6, v18, s20, v17
	v_mad_u64_u32 v[6:7], s[20:21], v6, s21, v[4:5]
	v_lshrrev_b32_e32 v28, 6, v6
	v_and_b32_e32 v6, 0x3c0, v4
	v_min_u32_e32 v6, 64, v6
	v_or_b32_e32 v6, 63, v6
	v_cmp_lt_i32_e32 vcc, v10, v9
	v_cmp_eq_u32_e64 s[30:31], v6, v4
	v_cndmask_b32_e32 v6, v10, v5, vcc
	s_movk_i32 s33, 0xf00
	v_lshlrev_b32_e32 v29, 2, v6
	v_and_b32_e32 v30, 60, v16
	v_and_or_b32 v6, v13, s33, v5
	v_cmp_eq_u32_e64 s[20:21], 0, v14
	v_cmp_lt_u32_e64 s[22:23], 1, v14
	v_cmp_lt_u32_e64 s[24:25], 3, v14
	;; [unrolled: 1-line block ×3, first 2 shown]
	v_cmp_eq_u32_e64 s[28:29], 0, v15
	v_cmp_eq_u32_e64 s[34:35], 0, v11
	v_add_u32_e32 v31, -4, v30
	v_lshlrev_b32_e32 v32, 2, v6
	s_sub_i32 s33, 0, s42
	s_sub_i32 s45, s43, s42
	s_mov_b32 s47, s46
	s_mov_b32 s48, s46
	;; [unrolled: 1-line block ×3, first 2 shown]
	v_add_u32_e32 v33, v12, v8
	v_mov_b32_e32 v6, 0
	s_branch .LBB2_3
.LBB2_2:                                ;   in Loop: Header=BB2_3 Depth=1
	s_barrier
	ds_write_b32 v38, v37
	ds_write_b32 v39, v36
	;; [unrolled: 1-line block ×4, first 2 shown]
	s_waitcnt lgkmcnt(0)
	s_barrier
	ds_read2st64_b32 v[0:1], v32 offset1:1
	ds_read2st64_b32 v[2:3], v32 offset0:2 offset1:3
	s_add_i32 s33, s33, -8
	s_add_i32 s45, s45, -8
	s_waitcnt lgkmcnt(0)
	s_barrier
	s_cbranch_execz .LBB2_19
.LBB2_3:                                ; =>This Inner Loop Header: Depth=1
	s_max_i32 s50, s42, 0
	s_add_i32 s36, s50, s33
	s_max_i32 s51, s33, 0
	s_sub_i32 s40, s36, s51
	s_min_u32 s36, s45, 8
	s_add_i32 s37, s43, s33
	s_min_u32 s41, s37, 8
	s_add_i32 s52, s36, s42
	s_cmp_lt_i32 s42, 16
	s_cselect_b64 s[36:37], -1, 0
	s_cmp_gt_i32 s52, 0
	s_cselect_b64 s[38:39], -1, 0
	s_and_b64 vcc, s[36:37], s[38:39]
	s_cmp_lt_i32 s42, 32
	s_cselect_b64 s[36:37], -1, 0
	s_cmp_gt_i32 s52, 16
	s_cselect_b64 s[38:39], -1, 0
	s_add_i32 s40, s40, s52
	s_min_i32 s40, s40, 16
	s_sub_i32 s40, s40, s50
	s_lshl_b32 s40, -1, s40
	s_max_i32 s54, s42, 16
	s_not_b32 s53, s40
	s_add_i32 s40, s33, 16
	s_add_i32 s54, s54, -16
	s_max_i32 s52, s40, 0
	s_add_i32 s40, s54, s41
	s_sub_i32 s40, s40, s52
	s_min_i32 s40, s40, 16
	s_sub_i32 s40, s40, s54
	v_mov_b32_e32 v37, v0
	v_mov_b32_e32 v36, v1
	;; [unrolled: 1-line block ×4, first 2 shown]
	v_pk_mov_b32 v[0:1], s[46:47], s[46:47] op_sel:[0,1]
	v_pk_mov_b32 v[2:3], s[48:49], s[48:49] op_sel:[0,1]
	s_lshl_b32 s40, -1, s40
	ds_write2_b64 v12, v[0:1], v[2:3] offset0:1 offset1:2
	s_not_b32 s55, s40
	v_lshrrev_b32_sdwa v0, s50, v37 dst_sel:DWORD dst_unused:UNUSED_PAD src0_sel:DWORD src1_sel:WORD_1
	v_lshrrev_b32_sdwa v1, s54, v37 dst_sel:DWORD dst_unused:UNUSED_PAD src0_sel:DWORD src1_sel:WORD_0
	v_and_b32_e32 v0, s53, v0
	v_and_b32_e32 v1, s55, v1
	v_lshlrev_b32_e32 v0, s51, v0
	v_lshlrev_b32_e32 v1, s52, v1
	s_and_b64 s[36:37], s[36:37], s[38:39]
	v_cndmask_b32_e32 v0, 0, v0, vcc
	v_cndmask_b32_e64 v1, 0, v1, s[36:37]
	v_or_b32_e32 v0, v0, v1
	v_lshl_add_u32 v1, v0, 1, v28
	v_lshl_add_u32 v38, v1, 2, 8
	v_and_b32_e32 v1, 1, v0
	v_add_co_u32_e64 v2, s[38:39], -1, v1
	v_addc_co_u32_e64 v3, s[38:39], 0, -1, s[38:39]
	v_cmp_ne_u32_e64 s[38:39], 0, v1
	v_lshlrev_b32_e32 v7, 30, v0
	v_xor_b32_e32 v1, s39, v3
	v_not_b32_e32 v3, v7
	v_xor_b32_e32 v2, s38, v2
	v_cmp_gt_i64_e64 s[38:39], 0, v[6:7]
	v_ashrrev_i32_e32 v3, 31, v3
	v_and_b32_e32 v1, exec_hi, v1
	v_xor_b32_e32 v7, s39, v3
	v_and_b32_e32 v2, exec_lo, v2
	v_xor_b32_e32 v3, s38, v3
	v_and_b32_e32 v1, v1, v7
	v_lshlrev_b32_e32 v7, 29, v0
	v_and_b32_e32 v2, v2, v3
	v_not_b32_e32 v3, v7
	v_cmp_gt_i64_e64 s[38:39], 0, v[6:7]
	v_ashrrev_i32_e32 v3, 31, v3
	v_xor_b32_e32 v7, s39, v3
	v_xor_b32_e32 v3, s38, v3
	v_and_b32_e32 v1, v1, v7
	v_lshlrev_b32_e32 v7, 28, v0
	v_and_b32_e32 v2, v2, v3
	v_not_b32_e32 v3, v7
	v_cmp_gt_i64_e64 s[38:39], 0, v[6:7]
	v_ashrrev_i32_e32 v3, 31, v3
	v_xor_b32_e32 v7, s39, v3
	;; [unrolled: 8-line block ×5, first 2 shown]
	v_and_b32_e32 v1, v1, v7
	v_lshlrev_b32_e32 v7, 24, v0
	v_not_b32_e32 v0, v7
	v_xor_b32_e32 v3, s38, v3
	v_cmp_gt_i64_e64 s[38:39], 0, v[6:7]
	v_ashrrev_i32_e32 v0, 31, v0
	v_and_b32_e32 v2, v2, v3
	v_xor_b32_e32 v3, s39, v0
	v_xor_b32_e32 v0, s38, v0
	v_and_b32_e32 v0, v2, v0
	v_and_b32_e32 v1, v1, v3
	v_mbcnt_lo_u32_b32 v2, v0, 0
	v_mbcnt_hi_u32_b32 v39, v1, v2
	v_cmp_eq_u32_e64 s[38:39], 0, v39
	v_cmp_ne_u64_e64 s[40:41], 0, v[0:1]
	s_and_b64 s[40:41], s[38:39], s[40:41]
	s_waitcnt lgkmcnt(0)
	s_barrier
	s_waitcnt lgkmcnt(0)
	; wave barrier
	s_and_saveexec_b64 s[38:39], s[40:41]
	s_cbranch_execz .LBB2_5
; %bb.4:                                ;   in Loop: Header=BB2_3 Depth=1
	v_bcnt_u32_b32 v0, v0, 0
	v_bcnt_u32_b32 v0, v1, v0
	ds_write_b32 v38, v0
.LBB2_5:                                ;   in Loop: Header=BB2_3 Depth=1
	s_or_b64 exec, exec, s[38:39]
	v_lshrrev_b32_sdwa v0, s50, v36 dst_sel:DWORD dst_unused:UNUSED_PAD src0_sel:DWORD src1_sel:WORD_1
	v_lshrrev_b32_sdwa v1, s54, v36 dst_sel:DWORD dst_unused:UNUSED_PAD src0_sel:DWORD src1_sel:WORD_0
	v_and_b32_e32 v0, s53, v0
	v_and_b32_e32 v1, s55, v1
	v_lshlrev_b32_e32 v0, s51, v0
	v_lshlrev_b32_e32 v1, s52, v1
	v_cndmask_b32_e32 v0, 0, v0, vcc
	v_cndmask_b32_e64 v1, 0, v1, s[36:37]
	v_or_b32_e32 v0, v0, v1
	v_lshlrev_b32_e32 v1, 1, v0
	v_add_lshl_u32 v1, v1, v28, 2
	; wave barrier
	v_add_u32_e32 v41, 8, v1
	ds_read_b32 v40, v1 offset:8
	v_and_b32_e32 v1, 1, v0
	v_add_co_u32_e64 v2, s[38:39], -1, v1
	v_addc_co_u32_e64 v3, s[38:39], 0, -1, s[38:39]
	v_cmp_ne_u32_e64 s[38:39], 0, v1
	v_lshlrev_b32_e32 v7, 30, v0
	v_xor_b32_e32 v1, s39, v3
	v_not_b32_e32 v3, v7
	v_xor_b32_e32 v2, s38, v2
	v_cmp_gt_i64_e64 s[38:39], 0, v[6:7]
	v_ashrrev_i32_e32 v3, 31, v3
	v_and_b32_e32 v1, exec_hi, v1
	v_xor_b32_e32 v7, s39, v3
	v_and_b32_e32 v2, exec_lo, v2
	v_xor_b32_e32 v3, s38, v3
	v_and_b32_e32 v1, v1, v7
	v_lshlrev_b32_e32 v7, 29, v0
	v_and_b32_e32 v2, v2, v3
	v_not_b32_e32 v3, v7
	v_cmp_gt_i64_e64 s[38:39], 0, v[6:7]
	v_ashrrev_i32_e32 v3, 31, v3
	v_xor_b32_e32 v7, s39, v3
	v_xor_b32_e32 v3, s38, v3
	v_and_b32_e32 v1, v1, v7
	v_lshlrev_b32_e32 v7, 28, v0
	v_and_b32_e32 v2, v2, v3
	v_not_b32_e32 v3, v7
	v_cmp_gt_i64_e64 s[38:39], 0, v[6:7]
	v_ashrrev_i32_e32 v3, 31, v3
	v_xor_b32_e32 v7, s39, v3
	;; [unrolled: 8-line block ×5, first 2 shown]
	v_and_b32_e32 v1, v1, v7
	v_lshlrev_b32_e32 v7, 24, v0
	v_not_b32_e32 v0, v7
	v_xor_b32_e32 v3, s38, v3
	v_cmp_gt_i64_e64 s[38:39], 0, v[6:7]
	v_ashrrev_i32_e32 v0, 31, v0
	v_and_b32_e32 v2, v2, v3
	v_xor_b32_e32 v3, s39, v0
	v_xor_b32_e32 v0, s38, v0
	v_and_b32_e32 v0, v2, v0
	v_and_b32_e32 v1, v1, v3
	v_mbcnt_lo_u32_b32 v2, v0, 0
	v_mbcnt_hi_u32_b32 v42, v1, v2
	v_cmp_eq_u32_e64 s[38:39], 0, v42
	v_cmp_ne_u64_e64 s[40:41], 0, v[0:1]
	s_and_b64 s[40:41], s[38:39], s[40:41]
	; wave barrier
	s_and_saveexec_b64 s[38:39], s[40:41]
	s_cbranch_execz .LBB2_7
; %bb.6:                                ;   in Loop: Header=BB2_3 Depth=1
	v_bcnt_u32_b32 v0, v0, 0
	v_bcnt_u32_b32 v0, v1, v0
	s_waitcnt lgkmcnt(0)
	v_add_u32_e32 v0, v40, v0
	ds_write_b32 v41, v0
.LBB2_7:                                ;   in Loop: Header=BB2_3 Depth=1
	s_or_b64 exec, exec, s[38:39]
	v_lshrrev_b32_sdwa v0, s50, v35 dst_sel:DWORD dst_unused:UNUSED_PAD src0_sel:DWORD src1_sel:WORD_1
	v_lshrrev_b32_sdwa v1, s54, v35 dst_sel:DWORD dst_unused:UNUSED_PAD src0_sel:DWORD src1_sel:WORD_0
	v_and_b32_e32 v0, s53, v0
	v_and_b32_e32 v1, s55, v1
	v_lshlrev_b32_e32 v0, s51, v0
	v_lshlrev_b32_e32 v1, s52, v1
	v_cndmask_b32_e32 v0, 0, v0, vcc
	v_cndmask_b32_e64 v1, 0, v1, s[36:37]
	v_or_b32_e32 v0, v0, v1
	v_lshlrev_b32_e32 v1, 1, v0
	v_add_lshl_u32 v1, v1, v28, 2
	; wave barrier
	v_add_u32_e32 v44, 8, v1
	ds_read_b32 v43, v1 offset:8
	v_and_b32_e32 v1, 1, v0
	v_add_co_u32_e64 v2, s[38:39], -1, v1
	v_addc_co_u32_e64 v3, s[38:39], 0, -1, s[38:39]
	v_cmp_ne_u32_e64 s[38:39], 0, v1
	v_lshlrev_b32_e32 v7, 30, v0
	v_xor_b32_e32 v1, s39, v3
	v_not_b32_e32 v3, v7
	v_xor_b32_e32 v2, s38, v2
	v_cmp_gt_i64_e64 s[38:39], 0, v[6:7]
	v_ashrrev_i32_e32 v3, 31, v3
	v_and_b32_e32 v1, exec_hi, v1
	v_xor_b32_e32 v7, s39, v3
	v_and_b32_e32 v2, exec_lo, v2
	v_xor_b32_e32 v3, s38, v3
	v_and_b32_e32 v1, v1, v7
	v_lshlrev_b32_e32 v7, 29, v0
	v_and_b32_e32 v2, v2, v3
	v_not_b32_e32 v3, v7
	v_cmp_gt_i64_e64 s[38:39], 0, v[6:7]
	v_ashrrev_i32_e32 v3, 31, v3
	v_xor_b32_e32 v7, s39, v3
	v_xor_b32_e32 v3, s38, v3
	v_and_b32_e32 v1, v1, v7
	v_lshlrev_b32_e32 v7, 28, v0
	v_and_b32_e32 v2, v2, v3
	v_not_b32_e32 v3, v7
	v_cmp_gt_i64_e64 s[38:39], 0, v[6:7]
	v_ashrrev_i32_e32 v3, 31, v3
	v_xor_b32_e32 v7, s39, v3
	;; [unrolled: 8-line block ×5, first 2 shown]
	v_and_b32_e32 v1, v1, v7
	v_lshlrev_b32_e32 v7, 24, v0
	v_not_b32_e32 v0, v7
	v_xor_b32_e32 v3, s38, v3
	v_cmp_gt_i64_e64 s[38:39], 0, v[6:7]
	v_ashrrev_i32_e32 v0, 31, v0
	v_and_b32_e32 v2, v2, v3
	v_xor_b32_e32 v3, s39, v0
	v_xor_b32_e32 v0, s38, v0
	v_and_b32_e32 v0, v2, v0
	v_and_b32_e32 v1, v1, v3
	v_mbcnt_lo_u32_b32 v2, v0, 0
	v_mbcnt_hi_u32_b32 v45, v1, v2
	v_cmp_eq_u32_e64 s[38:39], 0, v45
	v_cmp_ne_u64_e64 s[40:41], 0, v[0:1]
	s_and_b64 s[40:41], s[38:39], s[40:41]
	; wave barrier
	s_and_saveexec_b64 s[38:39], s[40:41]
	s_cbranch_execz .LBB2_9
; %bb.8:                                ;   in Loop: Header=BB2_3 Depth=1
	v_bcnt_u32_b32 v0, v0, 0
	v_bcnt_u32_b32 v0, v1, v0
	s_waitcnt lgkmcnt(0)
	v_add_u32_e32 v0, v43, v0
	ds_write_b32 v44, v0
.LBB2_9:                                ;   in Loop: Header=BB2_3 Depth=1
	s_or_b64 exec, exec, s[38:39]
	v_lshrrev_b32_sdwa v0, s50, v34 dst_sel:DWORD dst_unused:UNUSED_PAD src0_sel:DWORD src1_sel:WORD_1
	v_lshrrev_b32_sdwa v1, s54, v34 dst_sel:DWORD dst_unused:UNUSED_PAD src0_sel:DWORD src1_sel:WORD_0
	v_and_b32_e32 v0, s53, v0
	v_and_b32_e32 v1, s55, v1
	v_lshlrev_b32_e32 v0, s51, v0
	v_lshlrev_b32_e32 v1, s52, v1
	v_cndmask_b32_e32 v0, 0, v0, vcc
	v_cndmask_b32_e64 v1, 0, v1, s[36:37]
	v_or_b32_e32 v0, v0, v1
	v_lshlrev_b32_e32 v1, 1, v0
	v_add_lshl_u32 v1, v1, v28, 2
	; wave barrier
	v_add_u32_e32 v47, 8, v1
	ds_read_b32 v46, v1 offset:8
	v_and_b32_e32 v1, 1, v0
	v_add_co_u32_e32 v2, vcc, -1, v1
	v_addc_co_u32_e64 v3, s[36:37], 0, -1, vcc
	v_cmp_ne_u32_e32 vcc, 0, v1
	v_lshlrev_b32_e32 v7, 30, v0
	v_xor_b32_e32 v1, vcc_hi, v3
	v_not_b32_e32 v3, v7
	v_xor_b32_e32 v2, vcc_lo, v2
	v_cmp_gt_i64_e32 vcc, 0, v[6:7]
	v_ashrrev_i32_e32 v3, 31, v3
	v_and_b32_e32 v1, exec_hi, v1
	v_xor_b32_e32 v7, vcc_hi, v3
	v_and_b32_e32 v2, exec_lo, v2
	v_xor_b32_e32 v3, vcc_lo, v3
	v_and_b32_e32 v1, v1, v7
	v_lshlrev_b32_e32 v7, 29, v0
	v_and_b32_e32 v2, v2, v3
	v_not_b32_e32 v3, v7
	v_cmp_gt_i64_e32 vcc, 0, v[6:7]
	v_ashrrev_i32_e32 v3, 31, v3
	v_xor_b32_e32 v7, vcc_hi, v3
	v_xor_b32_e32 v3, vcc_lo, v3
	v_and_b32_e32 v1, v1, v7
	v_lshlrev_b32_e32 v7, 28, v0
	v_and_b32_e32 v2, v2, v3
	v_not_b32_e32 v3, v7
	v_cmp_gt_i64_e32 vcc, 0, v[6:7]
	v_ashrrev_i32_e32 v3, 31, v3
	v_xor_b32_e32 v7, vcc_hi, v3
	;; [unrolled: 8-line block ×5, first 2 shown]
	v_and_b32_e32 v1, v1, v7
	v_lshlrev_b32_e32 v7, 24, v0
	v_not_b32_e32 v0, v7
	v_xor_b32_e32 v3, vcc_lo, v3
	v_cmp_gt_i64_e32 vcc, 0, v[6:7]
	v_ashrrev_i32_e32 v0, 31, v0
	v_and_b32_e32 v2, v2, v3
	v_xor_b32_e32 v3, vcc_hi, v0
	v_xor_b32_e32 v0, vcc_lo, v0
	v_and_b32_e32 v0, v2, v0
	v_and_b32_e32 v1, v1, v3
	v_mbcnt_lo_u32_b32 v2, v0, 0
	v_mbcnt_hi_u32_b32 v7, v1, v2
	v_cmp_eq_u32_e32 vcc, 0, v7
	v_cmp_ne_u64_e64 s[36:37], 0, v[0:1]
	s_and_b64 s[38:39], vcc, s[36:37]
	; wave barrier
	s_and_saveexec_b64 s[36:37], s[38:39]
	s_cbranch_execz .LBB2_11
; %bb.10:                               ;   in Loop: Header=BB2_3 Depth=1
	v_bcnt_u32_b32 v0, v0, 0
	v_bcnt_u32_b32 v0, v1, v0
	s_waitcnt lgkmcnt(0)
	v_add_u32_e32 v0, v46, v0
	ds_write_b32 v47, v0
.LBB2_11:                               ;   in Loop: Header=BB2_3 Depth=1
	s_or_b64 exec, exec, s[36:37]
	; wave barrier
	s_waitcnt lgkmcnt(0)
	s_barrier
	ds_read2_b64 v[0:3], v12 offset0:1 offset1:2
	s_waitcnt lgkmcnt(0)
	v_add_u32_e32 v48, v1, v0
	v_add3_u32 v3, v48, v2, v3
	s_nop 1
	v_mov_b32_dpp v48, v3 row_shr:1 row_mask:0xf bank_mask:0xf
	v_cndmask_b32_e64 v48, v48, 0, s[20:21]
	v_add_u32_e32 v3, v48, v3
	s_nop 1
	v_mov_b32_dpp v48, v3 row_shr:2 row_mask:0xf bank_mask:0xf
	v_cndmask_b32_e64 v48, 0, v48, s[22:23]
	v_add_u32_e32 v3, v3, v48
	;; [unrolled: 4-line block ×4, first 2 shown]
	s_nop 1
	v_mov_b32_dpp v48, v3 row_bcast:15 row_mask:0xf bank_mask:0xf
	v_cndmask_b32_e64 v48, v48, 0, s[28:29]
	v_add_u32_e32 v3, v3, v48
	s_nop 1
	v_mov_b32_dpp v48, v3 row_bcast:31 row_mask:0xf bank_mask:0xf
	v_cndmask_b32_e64 v48, 0, v48, s[10:11]
	v_add_u32_e32 v3, v3, v48
	s_and_saveexec_b64 s[36:37], s[30:31]
	s_cbranch_execz .LBB2_13
; %bb.12:                               ;   in Loop: Header=BB2_3 Depth=1
	ds_write_b32 v30, v3
.LBB2_13:                               ;   in Loop: Header=BB2_3 Depth=1
	s_or_b64 exec, exec, s[36:37]
	s_waitcnt lgkmcnt(0)
	s_barrier
	s_and_saveexec_b64 s[36:37], s[12:13]
	s_cbranch_execz .LBB2_15
; %bb.14:                               ;   in Loop: Header=BB2_3 Depth=1
	ds_read_b32 v48, v33
	s_waitcnt lgkmcnt(0)
	s_nop 0
	v_mov_b32_dpp v49, v48 row_shr:1 row_mask:0xf bank_mask:0xf
	v_cndmask_b32_e64 v49, v49, 0, s[34:35]
	v_add_u32_e32 v48, v49, v48
	ds_write_b32 v33, v48
.LBB2_15:                               ;   in Loop: Header=BB2_3 Depth=1
	s_or_b64 exec, exec, s[36:37]
	v_mov_b32_e32 v48, 0
	s_waitcnt lgkmcnt(0)
	s_barrier
	s_and_saveexec_b64 s[36:37], s[14:15]
	s_cbranch_execz .LBB2_17
; %bb.16:                               ;   in Loop: Header=BB2_3 Depth=1
	ds_read_b32 v48, v31
.LBB2_17:                               ;   in Loop: Header=BB2_3 Depth=1
	s_or_b64 exec, exec, s[36:37]
	s_waitcnt lgkmcnt(0)
	v_add_u32_e32 v3, v48, v3
	ds_bpermute_b32 v3, v29, v3
	s_add_i32 s42, s42, 8
	s_cmp_ge_u32 s42, s43
	s_waitcnt lgkmcnt(0)
	v_cndmask_b32_e64 v3, v3, v48, s[16:17]
	v_cndmask_b32_e64 v48, v3, 0, s[18:19]
	v_add_u32_e32 v49, v48, v0
	v_add_u32_e32 v0, v49, v1
	;; [unrolled: 1-line block ×3, first 2 shown]
	ds_write2_b64 v12, v[48:49], v[0:1] offset0:1 offset1:2
	s_waitcnt lgkmcnt(0)
	s_barrier
	ds_read_b32 v0, v38
	ds_read_b32 v1, v41
	ds_read_b32 v2, v44
	ds_read_b32 v3, v47
	v_lshlrev_b32_e32 v38, 2, v39
	s_waitcnt lgkmcnt(3)
	v_lshl_add_u32 v38, v0, 2, v38
	v_lshlrev_b32_e32 v0, 2, v42
	v_lshlrev_b32_e32 v39, 2, v40
	s_waitcnt lgkmcnt(2)
	v_lshlrev_b32_e32 v1, 2, v1
	v_add3_u32 v39, v0, v39, v1
	v_lshlrev_b32_e32 v0, 2, v45
	v_lshlrev_b32_e32 v1, 2, v43
	s_waitcnt lgkmcnt(1)
	v_lshlrev_b32_e32 v2, 2, v2
	v_add3_u32 v40, v0, v1, v2
	;; [unrolled: 5-line block ×3, first 2 shown]
	s_cbranch_scc0 .LBB2_2
; %bb.18:
                                        ; implicit-def: $vgpr0
                                        ; implicit-def: $vgpr2
                                        ; implicit-def: $sgpr33
                                        ; implicit-def: $sgpr45
.LBB2_19:
	v_or_b32_e32 v1, 1, v13
	v_or_b32_e32 v2, 2, v13
	;; [unrolled: 1-line block ×3, first 2 shown]
	s_barrier
	ds_write_b32 v38, v37
	ds_write_b32 v39, v36
	ds_write_b32 v40, v35
	ds_write_b32 v7, v34
	s_waitcnt lgkmcnt(0)
	s_barrier
	v_add_co_u32_e32 v6, vcc, s44, v19
	v_addc_co_u32_e32 v7, vcc, 0, v27, vcc
	s_branch .LBB2_54
.LBB2_20:
                                        ; implicit-def: $vgpr0
                                        ; implicit-def: $vgpr2
                                        ; implicit-def: $vgpr1
	v_add_co_u32_e32 v6, vcc, s44, v19
	v_addc_co_u32_e32 v7, vcc, 0, v27, vcc
	s_cbranch_execz .LBB2_54
; %bb.21:
	ds_bpermute_b32 v19, v21, v22
	ds_bpermute_b32 v28, v21, v23
	;; [unrolled: 1-line block ×4, first 2 shown]
	s_waitcnt lgkmcnt(0)
	v_and_b32_e32 v1, 0xffff0000, v19
	v_cndmask_b32_e64 v1, 0, v1, s[0:1]
	v_and_b32_e32 v2, 0xffff0000, v28
	s_barrier
	s_load_dword s4, s[4:5], 0x1c
	v_cndmask_b32_e64 v1, v1, v2, s[2:3]
	v_and_b32_e32 v2, 0xffff0000, v29
	v_cndmask_b32_e64 v1, v1, v2, s[8:9]
	v_and_b32_e32 v2, 0xffff0000, v30
	v_cndmask_b32_e64 v27, v1, v2, s[6:7]
	v_xor_b32_e32 v1, 0x80, v21
	ds_bpermute_b32 v21, v1, v22
	ds_bpermute_b32 v34, v1, v23
	;; [unrolled: 1-line block ×4, first 2 shown]
	v_and_or_b32 v1, v20, 63, v9
	v_lshlrev_b32_e32 v1, 2, v1
	s_waitcnt lgkmcnt(0)
	s_lshr_b32 s5, s4, 16
	ds_bpermute_b32 v31, v26, v22
	ds_bpermute_b32 v32, v26, v23
	;; [unrolled: 1-line block ×8, first 2 shown]
	s_and_b32 s4, s4, 0xffff
	v_mad_u32_u24 v1, v18, s5, v17
	s_mov_b32 s10, 0
	v_mad_u64_u32 v[2:3], s[4:5], v1, s4, v[4:5]
	s_mov_b32 s11, s10
	s_mov_b32 s4, s10
	;; [unrolled: 1-line block ×3, first 2 shown]
	v_lshrrev_b32_e32 v17, 6, v2
	v_pk_mov_b32 v[2:3], s[10:11], s[10:11] op_sel:[0,1]
	v_pk_mov_b32 v[38:39], s[4:5], s[4:5] op_sel:[0,1]
	ds_write2_b64 v12, v[2:3], v[38:39] offset0:1 offset1:2
	v_mov_b32_e32 v38, 1
	v_lshlrev_b32_sdwa v1, v38, v27 dst_sel:DWORD dst_unused:UNUSED_PAD src0_sel:DWORD src1_sel:BYTE_2
	v_add_lshl_u32 v20, v1, v17, 2
	v_bfe_u32 v1, v27, 16, 1
	v_add_co_u32_e32 v2, vcc, -1, v1
	v_addc_co_u32_e64 v3, s[4:5], 0, -1, vcc
	v_cmp_ne_u32_e32 vcc, 0, v1
	v_xor_b32_e32 v1, vcc_hi, v3
	v_mov_b32_e32 v0, 0
	v_and_b32_e32 v3, exec_hi, v1
	v_lshlrev_b32_e32 v1, 14, v27
	v_xor_b32_e32 v2, vcc_lo, v2
	v_cmp_gt_i64_e32 vcc, 0, v[0:1]
	v_not_b32_e32 v1, v1
	v_ashrrev_i32_e32 v1, 31, v1
	v_and_b32_e32 v2, exec_lo, v2
	v_xor_b32_e32 v18, vcc_hi, v1
	v_xor_b32_e32 v1, vcc_lo, v1
	v_and_b32_e32 v2, v2, v1
	v_lshlrev_b32_e32 v1, 13, v27
	v_cmp_gt_i64_e32 vcc, 0, v[0:1]
	v_not_b32_e32 v1, v1
	v_ashrrev_i32_e32 v1, 31, v1
	v_and_b32_e32 v3, v3, v18
	v_xor_b32_e32 v18, vcc_hi, v1
	v_xor_b32_e32 v1, vcc_lo, v1
	v_and_b32_e32 v2, v2, v1
	v_lshlrev_b32_e32 v1, 12, v27
	v_cmp_gt_i64_e32 vcc, 0, v[0:1]
	v_not_b32_e32 v1, v1
	v_ashrrev_i32_e32 v1, 31, v1
	v_and_b32_e32 v3, v3, v18
	;; [unrolled: 8-line block ×6, first 2 shown]
	v_xor_b32_e32 v18, vcc_hi, v1
	v_xor_b32_e32 v1, vcc_lo, v1
	v_and_b32_e32 v2, v2, v1
	v_and_b32_e32 v3, v3, v18
	v_mbcnt_lo_u32_b32 v1, v2, 0
	v_mbcnt_hi_u32_b32 v37, v3, v1
	v_cmp_eq_u32_e32 vcc, 0, v37
	v_cmp_ne_u64_e64 s[4:5], 0, v[2:3]
	s_and_b64 s[10:11], vcc, s[4:5]
	s_waitcnt lgkmcnt(0)
	s_barrier
	s_waitcnt lgkmcnt(0)
	; wave barrier
	s_and_saveexec_b64 s[4:5], s[10:11]
	s_cbranch_execz .LBB2_23
; %bb.22:
	v_bcnt_u32_b32 v1, v2, 0
	v_bcnt_u32_b32 v1, v3, v1
	ds_write_b32 v20, v1 offset:8
.LBB2_23:
	s_or_b64 exec, exec, s[4:5]
	v_and_b32_e32 v1, 0xffff0000, v31
	v_cndmask_b32_e64 v1, 0, v1, s[0:1]
	v_and_b32_e32 v2, 0xffff0000, v32
	v_cndmask_b32_e64 v1, v1, v2, s[2:3]
	;; [unrolled: 2-line block ×4, first 2 shown]
	v_lshlrev_b32_sdwa v1, v38, v18 dst_sel:DWORD dst_unused:UNUSED_PAD src0_sel:DWORD src1_sel:BYTE_2
	v_add_lshl_u32 v39, v1, v17, 2
	v_bfe_u32 v1, v18, 16, 1
	v_add_co_u32_e32 v2, vcc, -1, v1
	v_addc_co_u32_e64 v3, s[4:5], 0, -1, vcc
	v_cmp_ne_u32_e32 vcc, 0, v1
	v_xor_b32_e32 v1, vcc_hi, v3
	v_and_b32_e32 v3, exec_hi, v1
	v_lshlrev_b32_e32 v1, 14, v18
	v_xor_b32_e32 v2, vcc_lo, v2
	v_cmp_gt_i64_e32 vcc, 0, v[0:1]
	v_not_b32_e32 v1, v1
	v_ashrrev_i32_e32 v1, 31, v1
	v_and_b32_e32 v2, exec_lo, v2
	v_xor_b32_e32 v40, vcc_hi, v1
	v_xor_b32_e32 v1, vcc_lo, v1
	v_and_b32_e32 v2, v2, v1
	v_lshlrev_b32_e32 v1, 13, v18
	v_cmp_gt_i64_e32 vcc, 0, v[0:1]
	v_not_b32_e32 v1, v1
	v_ashrrev_i32_e32 v1, 31, v1
	v_and_b32_e32 v3, v3, v40
	v_xor_b32_e32 v40, vcc_hi, v1
	v_xor_b32_e32 v1, vcc_lo, v1
	v_and_b32_e32 v2, v2, v1
	v_lshlrev_b32_e32 v1, 12, v18
	v_cmp_gt_i64_e32 vcc, 0, v[0:1]
	v_not_b32_e32 v1, v1
	v_ashrrev_i32_e32 v1, 31, v1
	v_and_b32_e32 v3, v3, v40
	;; [unrolled: 8-line block ×5, first 2 shown]
	v_xor_b32_e32 v40, vcc_hi, v1
	v_xor_b32_e32 v1, vcc_lo, v1
	v_and_b32_e32 v2, v2, v1
	v_lshlrev_b32_e32 v1, 8, v18
	v_cmp_gt_i64_e32 vcc, 0, v[0:1]
	v_not_b32_e32 v0, v1
	v_ashrrev_i32_e32 v0, 31, v0
	v_xor_b32_e32 v1, vcc_hi, v0
	v_xor_b32_e32 v0, vcc_lo, v0
	; wave barrier
	ds_read_b32 v38, v39 offset:8
	v_and_b32_e32 v3, v3, v40
	v_and_b32_e32 v0, v2, v0
	;; [unrolled: 1-line block ×3, first 2 shown]
	v_mbcnt_lo_u32_b32 v2, v0, 0
	v_mbcnt_hi_u32_b32 v40, v1, v2
	v_cmp_eq_u32_e32 vcc, 0, v40
	v_cmp_ne_u64_e64 s[4:5], 0, v[0:1]
	s_and_b64 s[10:11], vcc, s[4:5]
	; wave barrier
	s_and_saveexec_b64 s[4:5], s[10:11]
	s_cbranch_execz .LBB2_25
; %bb.24:
	v_bcnt_u32_b32 v0, v0, 0
	v_bcnt_u32_b32 v0, v1, v0
	s_waitcnt lgkmcnt(0)
	v_add_u32_e32 v0, v38, v0
	ds_write_b32 v39, v0 offset:8
.LBB2_25:
	s_or_b64 exec, exec, s[4:5]
	v_and_b32_e32 v1, 0xffff0000, v21
	v_cndmask_b32_e64 v1, 0, v1, s[0:1]
	v_and_b32_e32 v2, 0xffff0000, v34
	v_cndmask_b32_e64 v1, v1, v2, s[2:3]
	;; [unrolled: 2-line block ×4, first 2 shown]
	v_mov_b32_e32 v46, 1
	v_lshlrev_b32_sdwa v1, v46, v43 dst_sel:DWORD dst_unused:UNUSED_PAD src0_sel:DWORD src1_sel:BYTE_2
	v_add_lshl_u32 v42, v1, v17, 2
	v_bfe_u32 v1, v43, 16, 1
	v_add_co_u32_e32 v2, vcc, -1, v1
	v_addc_co_u32_e64 v3, s[4:5], 0, -1, vcc
	v_cmp_ne_u32_e32 vcc, 0, v1
	v_xor_b32_e32 v1, vcc_hi, v3
	v_mov_b32_e32 v0, 0
	v_and_b32_e32 v3, exec_hi, v1
	v_lshlrev_b32_e32 v1, 14, v43
	v_xor_b32_e32 v2, vcc_lo, v2
	v_cmp_gt_i64_e32 vcc, 0, v[0:1]
	v_not_b32_e32 v1, v1
	v_ashrrev_i32_e32 v1, 31, v1
	v_and_b32_e32 v2, exec_lo, v2
	v_xor_b32_e32 v44, vcc_hi, v1
	v_xor_b32_e32 v1, vcc_lo, v1
	v_and_b32_e32 v2, v2, v1
	v_lshlrev_b32_e32 v1, 13, v43
	v_cmp_gt_i64_e32 vcc, 0, v[0:1]
	v_not_b32_e32 v1, v1
	v_ashrrev_i32_e32 v1, 31, v1
	v_and_b32_e32 v3, v3, v44
	v_xor_b32_e32 v44, vcc_hi, v1
	v_xor_b32_e32 v1, vcc_lo, v1
	v_and_b32_e32 v2, v2, v1
	v_lshlrev_b32_e32 v1, 12, v43
	v_cmp_gt_i64_e32 vcc, 0, v[0:1]
	v_not_b32_e32 v1, v1
	v_ashrrev_i32_e32 v1, 31, v1
	v_and_b32_e32 v3, v3, v44
	;; [unrolled: 8-line block ×6, first 2 shown]
	v_xor_b32_e32 v44, vcc_hi, v1
	v_xor_b32_e32 v1, vcc_lo, v1
	; wave barrier
	ds_read_b32 v41, v42 offset:8
	v_and_b32_e32 v2, v2, v1
	v_and_b32_e32 v3, v3, v44
	v_mbcnt_lo_u32_b32 v1, v2, 0
	v_mbcnt_hi_u32_b32 v44, v3, v1
	v_cmp_eq_u32_e32 vcc, 0, v44
	v_cmp_ne_u64_e64 s[4:5], 0, v[2:3]
	v_and_b32_e32 v45, 0x3c0, v4
	s_and_b64 s[10:11], vcc, s[4:5]
	; wave barrier
	s_and_saveexec_b64 s[4:5], s[10:11]
	s_cbranch_execz .LBB2_27
; %bb.26:
	v_bcnt_u32_b32 v1, v2, 0
	v_bcnt_u32_b32 v1, v3, v1
	s_waitcnt lgkmcnt(0)
	v_add_u32_e32 v1, v41, v1
	ds_write_b32 v42, v1 offset:8
.LBB2_27:
	s_or_b64 exec, exec, s[4:5]
	v_and_b32_e32 v1, 0xffff0000, v22
	v_cndmask_b32_e64 v1, 0, v1, s[0:1]
	v_and_b32_e32 v2, 0xffff0000, v23
	v_cndmask_b32_e64 v1, v1, v2, s[2:3]
	;; [unrolled: 2-line block ×4, first 2 shown]
	v_lshlrev_b32_sdwa v1, v46, v47 dst_sel:DWORD dst_unused:UNUSED_PAD src0_sel:DWORD src1_sel:BYTE_2
	v_add_lshl_u32 v46, v1, v17, 2
	v_bfe_u32 v1, v47, 16, 1
	v_add_co_u32_e32 v2, vcc, -1, v1
	v_addc_co_u32_e64 v3, s[4:5], 0, -1, vcc
	v_cmp_ne_u32_e32 vcc, 0, v1
	v_xor_b32_e32 v1, vcc_hi, v3
	v_and_b32_e32 v3, exec_hi, v1
	v_lshlrev_b32_e32 v1, 14, v47
	v_xor_b32_e32 v2, vcc_lo, v2
	v_cmp_gt_i64_e32 vcc, 0, v[0:1]
	v_not_b32_e32 v1, v1
	v_ashrrev_i32_e32 v1, 31, v1
	v_and_b32_e32 v2, exec_lo, v2
	v_xor_b32_e32 v48, vcc_hi, v1
	v_xor_b32_e32 v1, vcc_lo, v1
	v_and_b32_e32 v2, v2, v1
	v_lshlrev_b32_e32 v1, 13, v47
	v_cmp_gt_i64_e32 vcc, 0, v[0:1]
	v_not_b32_e32 v1, v1
	v_ashrrev_i32_e32 v1, 31, v1
	v_and_b32_e32 v3, v3, v48
	v_xor_b32_e32 v48, vcc_hi, v1
	v_xor_b32_e32 v1, vcc_lo, v1
	v_and_b32_e32 v2, v2, v1
	v_lshlrev_b32_e32 v1, 12, v47
	v_cmp_gt_i64_e32 vcc, 0, v[0:1]
	v_not_b32_e32 v1, v1
	v_ashrrev_i32_e32 v1, 31, v1
	v_and_b32_e32 v3, v3, v48
	;; [unrolled: 8-line block ×5, first 2 shown]
	v_xor_b32_e32 v48, vcc_hi, v1
	v_xor_b32_e32 v1, vcc_lo, v1
	v_and_b32_e32 v2, v2, v1
	v_lshlrev_b32_e32 v1, 8, v47
	v_cmp_gt_i64_e32 vcc, 0, v[0:1]
	v_not_b32_e32 v0, v1
	v_ashrrev_i32_e32 v0, 31, v0
	v_xor_b32_e32 v1, vcc_hi, v0
	v_xor_b32_e32 v0, vcc_lo, v0
	v_min_u32_e32 v49, 64, v45
	; wave barrier
	ds_read_b32 v45, v46 offset:8
	v_and_b32_e32 v3, v3, v48
	v_and_b32_e32 v0, v2, v0
	;; [unrolled: 1-line block ×3, first 2 shown]
	v_mbcnt_lo_u32_b32 v2, v0, 0
	v_mbcnt_hi_u32_b32 v48, v1, v2
	v_cmp_eq_u32_e32 vcc, 0, v48
	v_cmp_ne_u64_e64 s[4:5], 0, v[0:1]
	s_and_b64 s[10:11], vcc, s[4:5]
	; wave barrier
	s_and_saveexec_b64 s[4:5], s[10:11]
	s_cbranch_execz .LBB2_29
; %bb.28:
	v_bcnt_u32_b32 v0, v0, 0
	v_bcnt_u32_b32 v0, v1, v0
	s_waitcnt lgkmcnt(0)
	v_add_u32_e32 v0, v45, v0
	ds_write_b32 v46, v0 offset:8
.LBB2_29:
	s_or_b64 exec, exec, s[4:5]
	; wave barrier
	s_waitcnt lgkmcnt(0)
	s_barrier
	ds_read2_b64 v[0:3], v12 offset0:1 offset1:2
	v_cmp_eq_u32_e64 s[4:5], 0, v15
	v_or_b32_e32 v15, 63, v49
	v_cmp_eq_u32_e64 s[10:11], v15, v4
	v_and_b32_e32 v15, 60, v16
	s_waitcnt lgkmcnt(0)
	v_add_u32_e32 v16, v1, v0
	v_add3_u32 v3, v16, v2, v3
	v_cmp_eq_u32_e64 s[12:13], 0, v14
	v_cmp_lt_u32_e64 s[14:15], 1, v14
	v_mov_b32_dpp v16, v3 row_shr:1 row_mask:0xf bank_mask:0xf
	v_cndmask_b32_e64 v16, v16, 0, s[12:13]
	v_add_u32_e32 v3, v16, v3
	v_cmp_lt_u32_e64 s[16:17], 3, v14
	v_cmp_lt_u32_e64 s[18:19], 7, v14
	v_mov_b32_dpp v16, v3 row_shr:2 row_mask:0xf bank_mask:0xf
	v_cndmask_b32_e64 v16, 0, v16, s[14:15]
	v_add_u32_e32 v3, v3, v16
	v_bfe_i32 v50, v5, 4, 1
	v_cmp_lt_u32_e64 s[20:21], 31, v5
	v_mov_b32_dpp v16, v3 row_shr:4 row_mask:0xf bank_mask:0xf
	v_cndmask_b32_e64 v16, 0, v16, s[16:17]
	v_add_u32_e32 v3, v3, v16
	s_nop 1
	v_mov_b32_dpp v16, v3 row_shr:8 row_mask:0xf bank_mask:0xf
	v_cndmask_b32_e64 v14, 0, v16, s[18:19]
	v_add_u32_e32 v3, v3, v14
	s_nop 1
	v_mov_b32_dpp v14, v3 row_bcast:15 row_mask:0xf bank_mask:0xf
	v_and_b32_e32 v14, v50, v14
	v_add_u32_e32 v3, v3, v14
	s_nop 1
	v_mov_b32_dpp v14, v3 row_bcast:31 row_mask:0xf bank_mask:0xf
	v_cndmask_b32_e64 v14, 0, v14, s[20:21]
	v_add_u32_e32 v3, v3, v14
	s_and_saveexec_b64 s[22:23], s[10:11]
	s_cbranch_execz .LBB2_31
; %bb.30:
	ds_write_b32 v15, v3
.LBB2_31:
	s_or_b64 exec, exec, s[22:23]
	v_cmp_gt_u32_e64 s[22:23], 2, v4
	v_cmp_eq_u32_e64 s[24:25], 0, v11
	v_add_u32_e32 v14, v12, v8
	s_waitcnt lgkmcnt(0)
	s_barrier
	s_and_saveexec_b64 s[26:27], s[22:23]
	s_cbranch_execz .LBB2_33
; %bb.32:
	ds_read_b32 v8, v14
	s_waitcnt lgkmcnt(0)
	s_nop 0
	v_mov_b32_dpp v11, v8 row_shr:1 row_mask:0xf bank_mask:0xf
	v_cndmask_b32_e64 v11, v11, 0, s[24:25]
	v_add_u32_e32 v8, v11, v8
	ds_write_b32 v14, v8
.LBB2_33:
	s_or_b64 exec, exec, s[26:27]
	v_cmp_lt_u32_e64 s[26:27], 63, v4
	v_add_u32_e32 v16, -4, v15
	v_mov_b32_e32 v8, 0
	v_mov_b32_e32 v11, 0
	s_waitcnt lgkmcnt(0)
	s_barrier
	s_and_saveexec_b64 s[28:29], s[26:27]
	s_cbranch_execz .LBB2_35
; %bb.34:
	ds_read_b32 v11, v16
.LBB2_35:
	s_or_b64 exec, exec, s[28:29]
	v_cndmask_b32_e64 v19, 0, v19, s[0:1]
	v_cndmask_b32_e64 v19, v19, v28, s[2:3]
	;; [unrolled: 1-line block ×6, first 2 shown]
	v_cmp_lt_i32_e32 vcc, v10, v9
	v_cndmask_b32_e64 v26, v28, v26, s[6:7]
	v_cndmask_b32_e64 v21, 0, v21, s[0:1]
	;; [unrolled: 1-line block ×3, first 2 shown]
	s_mov_b32 s0, 0xffff
	v_cndmask_b32_e32 v9, v10, v5, vcc
	v_cndmask_b32_e64 v22, v22, v24, s[8:9]
	v_and_or_b32 v24, v26, s0, v18
	v_lshlrev_b32_e32 v18, 2, v9
	s_waitcnt lgkmcnt(0)
	v_add_u32_e32 v3, v11, v3
	v_cndmask_b32_e64 v21, v21, v34, s[2:3]
	ds_bpermute_b32 v3, v18, v3
	v_cndmask_b32_e64 v19, v19, v29, s[8:9]
	v_cndmask_b32_e64 v21, v21, v35, s[8:9]
	;; [unrolled: 1-line block ×5, first 2 shown]
	v_and_or_b32 v23, v19, s0, v27
	v_and_or_b32 v21, v21, s0, v43
	;; [unrolled: 1-line block ×3, first 2 shown]
	s_movk_i32 s0, 0xf00
	v_and_or_b32 v10, v13, s0, v5
	v_cmp_eq_u32_e64 s[0:1], 0, v5
	s_waitcnt lgkmcnt(0)
	v_cndmask_b32_e64 v3, v3, v11, s[0:1]
	v_cmp_eq_u32_e64 s[2:3], 0, v4
	v_cndmask_b32_e64 v4, v3, 0, s[2:3]
	v_add_u32_e32 v5, v4, v0
	v_add_u32_e32 v0, v5, v1
	;; [unrolled: 1-line block ×3, first 2 shown]
	ds_write2_b64 v12, v[4:5], v[0:1] offset0:1 offset1:2
	s_waitcnt lgkmcnt(0)
	s_barrier
	ds_read_b32 v0, v20 offset:8
	ds_read_b32 v1, v39 offset:8
	;; [unrolled: 1-line block ×4, first 2 shown]
	v_lshlrev_b32_e32 v4, 2, v48
	v_lshlrev_b32_e32 v5, 2, v45
	s_waitcnt lgkmcnt(2)
	v_lshlrev_b32_e32 v1, 2, v1
	s_waitcnt lgkmcnt(1)
	;; [unrolled: 2-line block ×3, first 2 shown]
	v_lshlrev_b32_e32 v3, 2, v3
	v_add3_u32 v3, v4, v5, v3
	v_lshlrev_b32_e32 v4, 2, v44
	v_lshlrev_b32_e32 v5, 2, v41
	v_add3_u32 v2, v4, v5, v2
	v_lshlrev_b32_e32 v4, 2, v40
	;; [unrolled: 3-line block ×3, first 2 shown]
	v_lshlrev_b32_e32 v19, 2, v10
	v_lshl_add_u32 v0, v0, 2, v4
	s_barrier
	ds_write_b32 v0, v23
	ds_write_b32 v1, v24
	;; [unrolled: 1-line block ×4, first 2 shown]
	s_waitcnt lgkmcnt(0)
	s_barrier
	ds_read2st64_b32 v[0:1], v19 offset1:1
	ds_read2st64_b32 v[2:3], v19 offset0:2 offset1:3
	s_mov_b32 s28, 0
	s_mov_b32 s29, s28
	;; [unrolled: 1-line block ×5, first 2 shown]
	v_pk_mov_b32 v[4:5], s[28:29], s[28:29] op_sel:[0,1]
	v_pk_mov_b32 v[10:11], s[6:7], s[6:7] op_sel:[0,1]
	s_mov_b32 s31, 8
	s_waitcnt lgkmcnt(0)
	s_barrier
	s_branch .LBB2_37
.LBB2_36:                               ;   in Loop: Header=BB2_37 Depth=1
	s_barrier
	ds_write_b32 v24, v23
	ds_write_b32 v25, v22
	;; [unrolled: 1-line block ×4, first 2 shown]
	s_waitcnt lgkmcnt(0)
	s_barrier
	ds_read2st64_b32 v[0:1], v19 offset1:1
	ds_read2st64_b32 v[2:3], v19 offset0:2 offset1:3
	s_add_i32 s30, s30, -8
	s_add_i32 s31, s31, 8
	s_waitcnt lgkmcnt(0)
	s_barrier
	s_cbranch_execz .LBB2_53
.LBB2_37:                               ; =>This Inner Loop Header: Depth=1
	s_cmp_lt_u32 s31, 16
	s_cselect_b64 s[6:7], -1, 0
	s_cmp_gt_u32 s31, 8
	s_cselect_b64 vcc, -1, 0
	s_lshl_b32 s8, -1, s30
	s_not_b32 s34, s8
	s_max_i32 s33, s30, 0
	s_max_i32 s8, s31, 16
	s_add_i32 s35, s8, -16
	s_sub_i32 s8, s8, s33
	s_add_i32 s8, s8, -8
	s_min_i32 s8, s8, 16
	s_sub_i32 s8, s8, s35
	v_mov_b32_e32 v23, v0
	s_lshl_b32 s8, -1, s8
	v_mov_b32_e32 v22, v1
	s_not_b32 s36, s8
	v_lshrrev_b32_sdwa v1, s35, v23 dst_sel:DWORD dst_unused:UNUSED_PAD src0_sel:DWORD src1_sel:WORD_0
	v_lshrrev_b32_sdwa v0, s31, v23 dst_sel:DWORD dst_unused:UNUSED_PAD src0_sel:DWORD src1_sel:WORD_1
	v_and_b32_e32 v1, s36, v1
	v_and_b32_e32 v0, s34, v0
	v_lshlrev_b32_e32 v1, s33, v1
	v_cndmask_b32_e64 v0, 0, v0, s[6:7]
	v_cndmask_b32_e32 v1, 0, v1, vcc
	v_or_b32_e32 v0, v0, v1
	v_lshl_add_u32 v1, v0, 1, v17
	v_lshl_add_u32 v24, v1, 2, 8
	v_and_b32_e32 v1, 1, v0
	v_mov_b32_e32 v21, v2
	v_add_co_u32_e64 v2, s[8:9], -1, v1
	v_mov_b32_e32 v20, v3
	v_addc_co_u32_e64 v3, s[8:9], 0, -1, s[8:9]
	v_cmp_ne_u32_e64 s[8:9], 0, v1
	v_lshlrev_b32_e32 v9, 30, v0
	v_xor_b32_e32 v1, s9, v3
	v_not_b32_e32 v3, v9
	v_xor_b32_e32 v2, s8, v2
	v_cmp_gt_i64_e64 s[8:9], 0, v[8:9]
	v_ashrrev_i32_e32 v3, 31, v3
	v_and_b32_e32 v1, exec_hi, v1
	v_xor_b32_e32 v9, s9, v3
	v_and_b32_e32 v2, exec_lo, v2
	v_xor_b32_e32 v3, s8, v3
	v_and_b32_e32 v1, v1, v9
	v_lshlrev_b32_e32 v9, 29, v0
	v_and_b32_e32 v2, v2, v3
	v_not_b32_e32 v3, v9
	v_cmp_gt_i64_e64 s[8:9], 0, v[8:9]
	v_ashrrev_i32_e32 v3, 31, v3
	v_xor_b32_e32 v9, s9, v3
	v_xor_b32_e32 v3, s8, v3
	v_and_b32_e32 v1, v1, v9
	v_lshlrev_b32_e32 v9, 28, v0
	v_and_b32_e32 v2, v2, v3
	v_not_b32_e32 v3, v9
	v_cmp_gt_i64_e64 s[8:9], 0, v[8:9]
	v_ashrrev_i32_e32 v3, 31, v3
	v_xor_b32_e32 v9, s9, v3
	;; [unrolled: 8-line block ×5, first 2 shown]
	v_and_b32_e32 v1, v1, v9
	v_lshlrev_b32_e32 v9, 24, v0
	v_not_b32_e32 v0, v9
	v_xor_b32_e32 v3, s8, v3
	v_cmp_gt_i64_e64 s[8:9], 0, v[8:9]
	v_ashrrev_i32_e32 v0, 31, v0
	v_and_b32_e32 v2, v2, v3
	v_xor_b32_e32 v3, s9, v0
	v_xor_b32_e32 v0, s8, v0
	v_and_b32_e32 v0, v2, v0
	v_and_b32_e32 v1, v1, v3
	v_mbcnt_lo_u32_b32 v2, v0, 0
	v_mbcnt_hi_u32_b32 v25, v1, v2
	v_cmp_eq_u32_e64 s[8:9], 0, v25
	v_cmp_ne_u64_e64 s[28:29], 0, v[0:1]
	s_and_b64 s[28:29], s[8:9], s[28:29]
	ds_write2_b64 v12, v[4:5], v[10:11] offset0:1 offset1:2
	s_waitcnt lgkmcnt(0)
	s_barrier
	s_waitcnt lgkmcnt(0)
	; wave barrier
	s_and_saveexec_b64 s[8:9], s[28:29]
	s_cbranch_execz .LBB2_39
; %bb.38:                               ;   in Loop: Header=BB2_37 Depth=1
	v_bcnt_u32_b32 v0, v0, 0
	v_bcnt_u32_b32 v0, v1, v0
	ds_write_b32 v24, v0
.LBB2_39:                               ;   in Loop: Header=BB2_37 Depth=1
	s_or_b64 exec, exec, s[8:9]
	v_lshrrev_b32_sdwa v1, s35, v22 dst_sel:DWORD dst_unused:UNUSED_PAD src0_sel:DWORD src1_sel:WORD_0
	v_lshrrev_b32_sdwa v0, s31, v22 dst_sel:DWORD dst_unused:UNUSED_PAD src0_sel:DWORD src1_sel:WORD_1
	v_and_b32_e32 v1, s36, v1
	v_and_b32_e32 v0, s34, v0
	v_lshlrev_b32_e32 v1, s33, v1
	v_cndmask_b32_e64 v0, 0, v0, s[6:7]
	v_cndmask_b32_e32 v1, 0, v1, vcc
	v_or_b32_e32 v0, v0, v1
	v_lshlrev_b32_e32 v1, 1, v0
	v_add_lshl_u32 v1, v1, v17, 2
	; wave barrier
	v_add_u32_e32 v27, 8, v1
	ds_read_b32 v26, v1 offset:8
	v_and_b32_e32 v1, 1, v0
	v_add_co_u32_e64 v2, s[8:9], -1, v1
	v_addc_co_u32_e64 v3, s[8:9], 0, -1, s[8:9]
	v_cmp_ne_u32_e64 s[8:9], 0, v1
	v_lshlrev_b32_e32 v9, 30, v0
	v_xor_b32_e32 v1, s9, v3
	v_not_b32_e32 v3, v9
	v_xor_b32_e32 v2, s8, v2
	v_cmp_gt_i64_e64 s[8:9], 0, v[8:9]
	v_ashrrev_i32_e32 v3, 31, v3
	v_and_b32_e32 v1, exec_hi, v1
	v_xor_b32_e32 v9, s9, v3
	v_and_b32_e32 v2, exec_lo, v2
	v_xor_b32_e32 v3, s8, v3
	v_and_b32_e32 v1, v1, v9
	v_lshlrev_b32_e32 v9, 29, v0
	v_and_b32_e32 v2, v2, v3
	v_not_b32_e32 v3, v9
	v_cmp_gt_i64_e64 s[8:9], 0, v[8:9]
	v_ashrrev_i32_e32 v3, 31, v3
	v_xor_b32_e32 v9, s9, v3
	v_xor_b32_e32 v3, s8, v3
	v_and_b32_e32 v1, v1, v9
	v_lshlrev_b32_e32 v9, 28, v0
	v_and_b32_e32 v2, v2, v3
	v_not_b32_e32 v3, v9
	v_cmp_gt_i64_e64 s[8:9], 0, v[8:9]
	v_ashrrev_i32_e32 v3, 31, v3
	v_xor_b32_e32 v9, s9, v3
	;; [unrolled: 8-line block ×5, first 2 shown]
	v_and_b32_e32 v1, v1, v9
	v_lshlrev_b32_e32 v9, 24, v0
	v_not_b32_e32 v0, v9
	v_xor_b32_e32 v3, s8, v3
	v_cmp_gt_i64_e64 s[8:9], 0, v[8:9]
	v_ashrrev_i32_e32 v0, 31, v0
	v_and_b32_e32 v2, v2, v3
	v_xor_b32_e32 v3, s9, v0
	v_xor_b32_e32 v0, s8, v0
	v_and_b32_e32 v0, v2, v0
	v_and_b32_e32 v1, v1, v3
	v_mbcnt_lo_u32_b32 v2, v0, 0
	v_mbcnt_hi_u32_b32 v28, v1, v2
	v_cmp_eq_u32_e64 s[8:9], 0, v28
	v_cmp_ne_u64_e64 s[28:29], 0, v[0:1]
	s_and_b64 s[28:29], s[8:9], s[28:29]
	; wave barrier
	s_and_saveexec_b64 s[8:9], s[28:29]
	s_cbranch_execz .LBB2_41
; %bb.40:                               ;   in Loop: Header=BB2_37 Depth=1
	v_bcnt_u32_b32 v0, v0, 0
	v_bcnt_u32_b32 v0, v1, v0
	s_waitcnt lgkmcnt(0)
	v_add_u32_e32 v0, v26, v0
	ds_write_b32 v27, v0
.LBB2_41:                               ;   in Loop: Header=BB2_37 Depth=1
	s_or_b64 exec, exec, s[8:9]
	v_lshrrev_b32_sdwa v1, s35, v21 dst_sel:DWORD dst_unused:UNUSED_PAD src0_sel:DWORD src1_sel:WORD_0
	v_lshrrev_b32_sdwa v0, s31, v21 dst_sel:DWORD dst_unused:UNUSED_PAD src0_sel:DWORD src1_sel:WORD_1
	v_and_b32_e32 v1, s36, v1
	v_and_b32_e32 v0, s34, v0
	v_lshlrev_b32_e32 v1, s33, v1
	v_cndmask_b32_e64 v0, 0, v0, s[6:7]
	v_cndmask_b32_e32 v1, 0, v1, vcc
	v_or_b32_e32 v0, v0, v1
	v_lshlrev_b32_e32 v1, 1, v0
	v_add_lshl_u32 v1, v1, v17, 2
	; wave barrier
	v_add_u32_e32 v30, 8, v1
	ds_read_b32 v29, v1 offset:8
	v_and_b32_e32 v1, 1, v0
	v_add_co_u32_e64 v2, s[8:9], -1, v1
	v_addc_co_u32_e64 v3, s[8:9], 0, -1, s[8:9]
	v_cmp_ne_u32_e64 s[8:9], 0, v1
	v_lshlrev_b32_e32 v9, 30, v0
	v_xor_b32_e32 v1, s9, v3
	v_not_b32_e32 v3, v9
	v_xor_b32_e32 v2, s8, v2
	v_cmp_gt_i64_e64 s[8:9], 0, v[8:9]
	v_ashrrev_i32_e32 v3, 31, v3
	v_and_b32_e32 v1, exec_hi, v1
	v_xor_b32_e32 v9, s9, v3
	v_and_b32_e32 v2, exec_lo, v2
	v_xor_b32_e32 v3, s8, v3
	v_and_b32_e32 v1, v1, v9
	v_lshlrev_b32_e32 v9, 29, v0
	v_and_b32_e32 v2, v2, v3
	v_not_b32_e32 v3, v9
	v_cmp_gt_i64_e64 s[8:9], 0, v[8:9]
	v_ashrrev_i32_e32 v3, 31, v3
	v_xor_b32_e32 v9, s9, v3
	v_xor_b32_e32 v3, s8, v3
	v_and_b32_e32 v1, v1, v9
	v_lshlrev_b32_e32 v9, 28, v0
	v_and_b32_e32 v2, v2, v3
	v_not_b32_e32 v3, v9
	v_cmp_gt_i64_e64 s[8:9], 0, v[8:9]
	v_ashrrev_i32_e32 v3, 31, v3
	v_xor_b32_e32 v9, s9, v3
	;; [unrolled: 8-line block ×5, first 2 shown]
	v_and_b32_e32 v1, v1, v9
	v_lshlrev_b32_e32 v9, 24, v0
	v_not_b32_e32 v0, v9
	v_xor_b32_e32 v3, s8, v3
	v_cmp_gt_i64_e64 s[8:9], 0, v[8:9]
	v_ashrrev_i32_e32 v0, 31, v0
	v_and_b32_e32 v2, v2, v3
	v_xor_b32_e32 v3, s9, v0
	v_xor_b32_e32 v0, s8, v0
	v_and_b32_e32 v0, v2, v0
	v_and_b32_e32 v1, v1, v3
	v_mbcnt_lo_u32_b32 v2, v0, 0
	v_mbcnt_hi_u32_b32 v31, v1, v2
	v_cmp_eq_u32_e64 s[8:9], 0, v31
	v_cmp_ne_u64_e64 s[28:29], 0, v[0:1]
	s_and_b64 s[28:29], s[8:9], s[28:29]
	; wave barrier
	s_and_saveexec_b64 s[8:9], s[28:29]
	s_cbranch_execz .LBB2_43
; %bb.42:                               ;   in Loop: Header=BB2_37 Depth=1
	v_bcnt_u32_b32 v0, v0, 0
	v_bcnt_u32_b32 v0, v1, v0
	s_waitcnt lgkmcnt(0)
	v_add_u32_e32 v0, v29, v0
	ds_write_b32 v30, v0
.LBB2_43:                               ;   in Loop: Header=BB2_37 Depth=1
	s_or_b64 exec, exec, s[8:9]
	v_lshrrev_b32_sdwa v1, s35, v20 dst_sel:DWORD dst_unused:UNUSED_PAD src0_sel:DWORD src1_sel:WORD_0
	v_lshrrev_b32_sdwa v0, s31, v20 dst_sel:DWORD dst_unused:UNUSED_PAD src0_sel:DWORD src1_sel:WORD_1
	v_and_b32_e32 v1, s36, v1
	v_and_b32_e32 v0, s34, v0
	v_lshlrev_b32_e32 v1, s33, v1
	v_cndmask_b32_e64 v0, 0, v0, s[6:7]
	v_cndmask_b32_e32 v1, 0, v1, vcc
	v_or_b32_e32 v0, v0, v1
	v_lshlrev_b32_e32 v1, 1, v0
	v_add_lshl_u32 v1, v1, v17, 2
	; wave barrier
	v_add_u32_e32 v33, 8, v1
	ds_read_b32 v32, v1 offset:8
	v_and_b32_e32 v1, 1, v0
	v_add_co_u32_e32 v2, vcc, -1, v1
	v_addc_co_u32_e64 v3, s[6:7], 0, -1, vcc
	v_cmp_ne_u32_e32 vcc, 0, v1
	v_lshlrev_b32_e32 v9, 30, v0
	v_xor_b32_e32 v1, vcc_hi, v3
	v_not_b32_e32 v3, v9
	v_xor_b32_e32 v2, vcc_lo, v2
	v_cmp_gt_i64_e32 vcc, 0, v[8:9]
	v_ashrrev_i32_e32 v3, 31, v3
	v_and_b32_e32 v1, exec_hi, v1
	v_xor_b32_e32 v9, vcc_hi, v3
	v_and_b32_e32 v2, exec_lo, v2
	v_xor_b32_e32 v3, vcc_lo, v3
	v_and_b32_e32 v1, v1, v9
	v_lshlrev_b32_e32 v9, 29, v0
	v_and_b32_e32 v2, v2, v3
	v_not_b32_e32 v3, v9
	v_cmp_gt_i64_e32 vcc, 0, v[8:9]
	v_ashrrev_i32_e32 v3, 31, v3
	v_xor_b32_e32 v9, vcc_hi, v3
	v_xor_b32_e32 v3, vcc_lo, v3
	v_and_b32_e32 v1, v1, v9
	v_lshlrev_b32_e32 v9, 28, v0
	v_and_b32_e32 v2, v2, v3
	v_not_b32_e32 v3, v9
	v_cmp_gt_i64_e32 vcc, 0, v[8:9]
	v_ashrrev_i32_e32 v3, 31, v3
	v_xor_b32_e32 v9, vcc_hi, v3
	;; [unrolled: 8-line block ×5, first 2 shown]
	v_and_b32_e32 v1, v1, v9
	v_lshlrev_b32_e32 v9, 24, v0
	v_not_b32_e32 v0, v9
	v_xor_b32_e32 v3, vcc_lo, v3
	v_cmp_gt_i64_e32 vcc, 0, v[8:9]
	v_ashrrev_i32_e32 v0, 31, v0
	v_and_b32_e32 v2, v2, v3
	v_xor_b32_e32 v3, vcc_hi, v0
	v_xor_b32_e32 v0, vcc_lo, v0
	v_and_b32_e32 v0, v2, v0
	v_and_b32_e32 v1, v1, v3
	v_mbcnt_lo_u32_b32 v2, v0, 0
	v_mbcnt_hi_u32_b32 v9, v1, v2
	v_cmp_eq_u32_e32 vcc, 0, v9
	v_cmp_ne_u64_e64 s[6:7], 0, v[0:1]
	s_and_b64 s[8:9], vcc, s[6:7]
	; wave barrier
	s_and_saveexec_b64 s[6:7], s[8:9]
	s_cbranch_execz .LBB2_45
; %bb.44:                               ;   in Loop: Header=BB2_37 Depth=1
	v_bcnt_u32_b32 v0, v0, 0
	v_bcnt_u32_b32 v0, v1, v0
	s_waitcnt lgkmcnt(0)
	v_add_u32_e32 v0, v32, v0
	ds_write_b32 v33, v0
.LBB2_45:                               ;   in Loop: Header=BB2_37 Depth=1
	s_or_b64 exec, exec, s[6:7]
	; wave barrier
	s_waitcnt lgkmcnt(0)
	s_barrier
	ds_read2_b64 v[0:3], v12 offset0:1 offset1:2
	s_waitcnt lgkmcnt(0)
	v_add_u32_e32 v34, v1, v0
	v_add3_u32 v3, v34, v2, v3
	s_nop 1
	v_mov_b32_dpp v34, v3 row_shr:1 row_mask:0xf bank_mask:0xf
	v_cndmask_b32_e64 v34, v34, 0, s[12:13]
	v_add_u32_e32 v3, v34, v3
	s_nop 1
	v_mov_b32_dpp v34, v3 row_shr:2 row_mask:0xf bank_mask:0xf
	v_cndmask_b32_e64 v34, 0, v34, s[14:15]
	v_add_u32_e32 v3, v3, v34
	;; [unrolled: 4-line block ×4, first 2 shown]
	s_nop 1
	v_mov_b32_dpp v34, v3 row_bcast:15 row_mask:0xf bank_mask:0xf
	v_cndmask_b32_e64 v34, v34, 0, s[4:5]
	v_add_u32_e32 v3, v3, v34
	s_nop 1
	v_mov_b32_dpp v34, v3 row_bcast:31 row_mask:0xf bank_mask:0xf
	v_cndmask_b32_e64 v34, 0, v34, s[20:21]
	v_add_u32_e32 v3, v3, v34
	s_and_saveexec_b64 s[6:7], s[10:11]
	s_cbranch_execz .LBB2_47
; %bb.46:                               ;   in Loop: Header=BB2_37 Depth=1
	ds_write_b32 v15, v3
.LBB2_47:                               ;   in Loop: Header=BB2_37 Depth=1
	s_or_b64 exec, exec, s[6:7]
	s_waitcnt lgkmcnt(0)
	s_barrier
	s_and_saveexec_b64 s[6:7], s[22:23]
	s_cbranch_execz .LBB2_49
; %bb.48:                               ;   in Loop: Header=BB2_37 Depth=1
	ds_read_b32 v34, v14
	s_waitcnt lgkmcnt(0)
	s_nop 0
	v_mov_b32_dpp v35, v34 row_shr:1 row_mask:0xf bank_mask:0xf
	v_cndmask_b32_e64 v35, v35, 0, s[24:25]
	v_add_u32_e32 v34, v35, v34
	ds_write_b32 v14, v34
.LBB2_49:                               ;   in Loop: Header=BB2_37 Depth=1
	s_or_b64 exec, exec, s[6:7]
	v_mov_b32_e32 v34, 0
	s_waitcnt lgkmcnt(0)
	s_barrier
	s_and_saveexec_b64 s[6:7], s[26:27]
	s_cbranch_execz .LBB2_51
; %bb.50:                               ;   in Loop: Header=BB2_37 Depth=1
	ds_read_b32 v34, v16
.LBB2_51:                               ;   in Loop: Header=BB2_37 Depth=1
	s_or_b64 exec, exec, s[6:7]
	s_waitcnt lgkmcnt(0)
	v_add_u32_e32 v3, v34, v3
	ds_bpermute_b32 v3, v18, v3
	s_cmp_gt_u32 s31, 23
	s_waitcnt lgkmcnt(0)
	v_cndmask_b32_e64 v3, v3, v34, s[0:1]
	v_cndmask_b32_e64 v34, v3, 0, s[2:3]
	v_add_u32_e32 v35, v34, v0
	v_add_u32_e32 v0, v35, v1
	;; [unrolled: 1-line block ×3, first 2 shown]
	ds_write2_b64 v12, v[34:35], v[0:1] offset0:1 offset1:2
	s_waitcnt lgkmcnt(0)
	s_barrier
	ds_read_b32 v0, v24
	ds_read_b32 v1, v27
	;; [unrolled: 1-line block ×4, first 2 shown]
	v_lshlrev_b32_e32 v24, 2, v25
	s_waitcnt lgkmcnt(3)
	v_lshl_add_u32 v24, v0, 2, v24
	v_lshlrev_b32_e32 v0, 2, v28
	v_lshlrev_b32_e32 v25, 2, v26
	s_waitcnt lgkmcnt(2)
	v_lshlrev_b32_e32 v1, 2, v1
	v_add3_u32 v25, v0, v25, v1
	v_lshlrev_b32_e32 v0, 2, v31
	v_lshlrev_b32_e32 v1, 2, v29
	s_waitcnt lgkmcnt(1)
	v_lshlrev_b32_e32 v2, 2, v2
	v_add3_u32 v26, v0, v1, v2
	v_lshlrev_b32_e32 v0, 2, v9
	v_lshlrev_b32_e32 v1, 2, v32
	s_waitcnt lgkmcnt(0)
	v_lshlrev_b32_e32 v2, 2, v3
	v_add3_u32 v9, v0, v1, v2
	s_cbranch_scc0 .LBB2_36
; %bb.52:
                                        ; implicit-def: $sgpr31
                                        ; implicit-def: $vgpr0
                                        ; implicit-def: $vgpr2
                                        ; implicit-def: $sgpr30
.LBB2_53:
	v_or_b32_e32 v1, 1, v13
	v_or_b32_e32 v2, 2, v13
	;; [unrolled: 1-line block ×3, first 2 shown]
	s_barrier
	ds_write_b32 v24, v23
	ds_write_b32 v25, v22
	;; [unrolled: 1-line block ×4, first 2 shown]
	s_waitcnt lgkmcnt(0)
	s_barrier
.LBB2_54:
	v_lshlrev_b32_e32 v2, 2, v2
	v_lshlrev_b32_e32 v1, 2, v1
	;; [unrolled: 1-line block ×3, first 2 shown]
	ds_read_b32 v3, v12
	ds_read_b32 v2, v2
	;; [unrolled: 1-line block ×4, first 2 shown]
	s_movk_i32 s0, 0x8000
	s_waitcnt lgkmcnt(3)
	v_xor_b32_e32 v4, 0xffff8000, v3
	v_xor_b32_sdwa v5, v3, s0 dst_sel:DWORD dst_unused:UNUSED_PAD src0_sel:WORD_1 src1_sel:DWORD
	s_waitcnt lgkmcnt(1)
	v_xor_b32_e32 v8, 0xffff8000, v1
	v_xor_b32_sdwa v1, v1, s0 dst_sel:DWORD dst_unused:UNUSED_PAD src0_sel:WORD_1 src1_sel:DWORD
	v_xor_b32_e32 v9, 0xffff8000, v2
	v_xor_b32_sdwa v2, v2, s0 dst_sel:DWORD dst_unused:UNUSED_PAD src0_sel:WORD_1 src1_sel:DWORD
	s_waitcnt lgkmcnt(0)
	v_xor_b32_e32 v3, 0xffff8000, v0
	v_xor_b32_sdwa v0, v0, s0 dst_sel:DWORD dst_unused:UNUSED_PAD src0_sel:WORD_1 src1_sel:DWORD
	s_mov_b32 s0, 0x5040100
	v_perm_b32 v3, v0, v3, s0
	v_perm_b32 v2, v2, v9, s0
	;; [unrolled: 1-line block ×4, first 2 shown]
	global_store_dwordx4 v[6:7], v[0:3], off
	s_endpgm
	.section	.rodata,"a",@progbits
	.p2align	6, 0x0
	.amdhsa_kernel _Z15sort_key_kernelILj128ELj4ELb0ELb0EN10test_utils16custom_test_typeIsEEEvPT3_jj
		.amdhsa_group_segment_fixed_size 2064
		.amdhsa_private_segment_fixed_size 0
		.amdhsa_kernarg_size 272
		.amdhsa_user_sgpr_count 6
		.amdhsa_user_sgpr_private_segment_buffer 1
		.amdhsa_user_sgpr_dispatch_ptr 0
		.amdhsa_user_sgpr_queue_ptr 0
		.amdhsa_user_sgpr_kernarg_segment_ptr 1
		.amdhsa_user_sgpr_dispatch_id 0
		.amdhsa_user_sgpr_flat_scratch_init 0
		.amdhsa_user_sgpr_kernarg_preload_length 0
		.amdhsa_user_sgpr_kernarg_preload_offset 0
		.amdhsa_user_sgpr_private_segment_size 0
		.amdhsa_uses_dynamic_stack 0
		.amdhsa_system_sgpr_private_segment_wavefront_offset 0
		.amdhsa_system_sgpr_workgroup_id_x 1
		.amdhsa_system_sgpr_workgroup_id_y 0
		.amdhsa_system_sgpr_workgroup_id_z 0
		.amdhsa_system_sgpr_workgroup_info 0
		.amdhsa_system_vgpr_workitem_id 2
		.amdhsa_next_free_vgpr 51
		.amdhsa_next_free_sgpr 56
		.amdhsa_accum_offset 52
		.amdhsa_reserve_vcc 1
		.amdhsa_reserve_flat_scratch 0
		.amdhsa_float_round_mode_32 0
		.amdhsa_float_round_mode_16_64 0
		.amdhsa_float_denorm_mode_32 3
		.amdhsa_float_denorm_mode_16_64 3
		.amdhsa_dx10_clamp 1
		.amdhsa_ieee_mode 1
		.amdhsa_fp16_overflow 0
		.amdhsa_tg_split 0
		.amdhsa_exception_fp_ieee_invalid_op 0
		.amdhsa_exception_fp_denorm_src 0
		.amdhsa_exception_fp_ieee_div_zero 0
		.amdhsa_exception_fp_ieee_overflow 0
		.amdhsa_exception_fp_ieee_underflow 0
		.amdhsa_exception_fp_ieee_inexact 0
		.amdhsa_exception_int_div_zero 0
	.end_amdhsa_kernel
	.section	.text._Z15sort_key_kernelILj128ELj4ELb0ELb0EN10test_utils16custom_test_typeIsEEEvPT3_jj,"axG",@progbits,_Z15sort_key_kernelILj128ELj4ELb0ELb0EN10test_utils16custom_test_typeIsEEEvPT3_jj,comdat
.Lfunc_end2:
	.size	_Z15sort_key_kernelILj128ELj4ELb0ELb0EN10test_utils16custom_test_typeIsEEEvPT3_jj, .Lfunc_end2-_Z15sort_key_kernelILj128ELj4ELb0ELb0EN10test_utils16custom_test_typeIsEEEvPT3_jj
                                        ; -- End function
	.section	.AMDGPU.csdata,"",@progbits
; Kernel info:
; codeLenInByte = 9204
; NumSgprs: 60
; NumVgprs: 51
; NumAgprs: 0
; TotalNumVgprs: 51
; ScratchSize: 0
; MemoryBound: 0
; FloatMode: 240
; IeeeMode: 1
; LDSByteSize: 2064 bytes/workgroup (compile time only)
; SGPRBlocks: 7
; VGPRBlocks: 6
; NumSGPRsForWavesPerEU: 60
; NumVGPRsForWavesPerEU: 51
; AccumOffset: 52
; Occupancy: 8
; WaveLimiterHint : 0
; COMPUTE_PGM_RSRC2:SCRATCH_EN: 0
; COMPUTE_PGM_RSRC2:USER_SGPR: 6
; COMPUTE_PGM_RSRC2:TRAP_HANDLER: 0
; COMPUTE_PGM_RSRC2:TGID_X_EN: 1
; COMPUTE_PGM_RSRC2:TGID_Y_EN: 0
; COMPUTE_PGM_RSRC2:TGID_Z_EN: 0
; COMPUTE_PGM_RSRC2:TIDIG_COMP_CNT: 2
; COMPUTE_PGM_RSRC3_GFX90A:ACCUM_OFFSET: 12
; COMPUTE_PGM_RSRC3_GFX90A:TG_SPLIT: 0
	.section	.text._Z15sort_key_kernelILj60ELj1ELb0ELb1EtEvPT3_jj,"axG",@progbits,_Z15sort_key_kernelILj60ELj1ELb0ELb1EtEvPT3_jj,comdat
	.protected	_Z15sort_key_kernelILj60ELj1ELb0ELb1EtEvPT3_jj ; -- Begin function _Z15sort_key_kernelILj60ELj1ELb0ELb1EtEvPT3_jj
	.globl	_Z15sort_key_kernelILj60ELj1ELb0ELb1EtEvPT3_jj
	.p2align	8
	.type	_Z15sort_key_kernelILj60ELj1ELb0ELb1EtEvPT3_jj,@function
_Z15sort_key_kernelILj60ELj1ELb0ELb1EtEvPT3_jj: ; @_Z15sort_key_kernelILj60ELj1ELb0ELb1EtEvPT3_jj
; %bb.0:
	s_load_dwordx4 s[24:27], s[4:5], 0x0
	s_mul_i32 s0, s6, 60
	s_mov_b32 s1, 0
	s_lshl_b64 s[0:1], s[0:1], 1
	v_lshlrev_b32_e32 v1, 1, v0
	s_waitcnt lgkmcnt(0)
	s_add_u32 s20, s24, s0
	s_addc_u32 s21, s25, s1
	global_load_ushort v2, v1, s[20:21]
	v_mbcnt_lo_u32_b32 v3, -1, 0
	v_mbcnt_hi_u32_b32 v3, -1, v3
	v_add_u32_e32 v6, -1, v3
	v_and_b32_e32 v7, 64, v3
	s_movk_i32 s0, 0x1e0
	v_cmp_lt_i32_e32 vcc, v6, v7
	v_cmp_gt_u32_e64 s[16:17], s0, v0
	v_and_b32_e32 v4, 15, v3
	v_and_b32_e32 v5, 16, v3
	v_cmp_lt_u32_e64 s[4:5], 31, v3
	v_cmp_eq_u32_e64 s[0:1], 0, v3
	v_cndmask_b32_e32 v3, v6, v3, vcc
	s_cmp_eq_u32 s26, 0
	v_lshlrev_b32_e32 v16, 2, v3
	v_mov_b32_e32 v3, s21
	v_add_co_u32_e32 v10, vcc, s20, v1
	s_cselect_b64 s[20:21], -1, 0
	s_cmp_eq_u32 s27, 16
	s_cselect_b64 s[22:23], -1, 0
	v_addc_co_u32_e32 v11, vcc, 0, v3, vcc
	s_and_b64 s[20:21], s[20:21], s[22:23]
	s_mov_b64 s[18:19], -1
	v_lshlrev_b32_e32 v13, 5, v0
	v_cmp_eq_u32_e64 s[2:3], 59, v0
	v_mul_i32_i24_e32 v15, 0xffffffe2, v0
	v_cmp_eq_u32_e64 s[14:15], 0, v4
	v_cmp_lt_u32_e64 s[12:13], 1, v4
	v_cmp_lt_u32_e64 s[10:11], 3, v4
	v_cmp_lt_u32_e64 s[8:9], 7, v4
	v_cmp_eq_u32_e64 s[6:7], 0, v5
	s_and_b64 vcc, exec, s[20:21]
	s_waitcnt vmcnt(0)
	v_xor_b32_e32 v17, -1, v2
	s_cbranch_vccnz .LBB3_36
; %bb.1:
	s_movk_i32 s18, 0x1a4
	v_mov_b32_e32 v1, 0x1a4
	v_cmp_gt_u32_e32 vcc, s18, v0
	v_subb_co_u32_e64 v1, s[18:19], v1, v0, vcc
	s_mov_b32 s18, 0x4444445
	v_mul_hi_u32 v1, v1, s18
	v_addc_co_u32_e32 v12, vcc, 0, v1, vcc
	v_lshrrev_b32_e32 v1, 1, v12
	v_add_u32_e32 v2, 1, v1
	v_and_b32_e32 v3, 3, v2
	v_mov_b32_e32 v1, v12
	v_cmp_lt_u32_e64 s[18:19], 5, v12
	v_and_b32_e32 v18, 28, v2
	v_cmp_ne_u32_e64 s[20:21], 0, v3
	v_lshlrev_b32_e32 v14, 2, v0
	s_movk_i32 s33, 0xf0
	v_mul_u32_u24_e32 v19, 0xf0, v3
	v_mov_b32_e32 v20, 0
	v_mov_b32_e32 v21, 1
	;; [unrolled: 1-line block ×3, first 2 shown]
	s_branch .LBB3_3
.LBB3_2:                                ;   in Loop: Header=BB3_3 Depth=1
	v_add_u32_e32 v3, v13, v15
	; wave barrier
	ds_write_b16 v2, v22
	s_waitcnt lgkmcnt(0)
	; wave barrier
	s_waitcnt lgkmcnt(0)
	ds_read_u16 v3, v3
	s_waitcnt lgkmcnt(0)
	; wave barrier
	s_waitcnt lgkmcnt(0)
	s_cbranch_execz .LBB3_35
.LBB3_3:                                ; =>This Loop Header: Depth=1
                                        ;     Child Loop BB3_7 Depth 2
                                        ;     Child Loop BB3_27 Depth 2
	v_mov_b32_e32 v22, v3
	s_and_saveexec_b64 s[24:25], s[16:17]
	s_cbranch_execz .LBB3_31
; %bb.4:                                ;   in Loop: Header=BB3_3 Depth=1
	v_mov_b32_e32 v4, 0
	s_and_saveexec_b64 s[28:29], s[18:19]
	s_cbranch_execz .LBB3_24
; %bb.5:                                ;   in Loop: Header=BB3_3 Depth=1
	s_mov_b32 s36, 0
	s_mov_b64 s[30:31], 0
	v_mov_b32_e32 v2, v18
	v_mov_b32_e32 v3, v14
	s_branch .LBB3_7
.LBB3_6:                                ;   in Loop: Header=BB3_7 Depth=2
	s_or_b64 exec, exec, s[22:23]
	v_add_u32_e32 v2, -4, v2
	s_add_i32 s22, s36, 8
	v_cmp_eq_u32_e32 vcc, 0, v2
	s_add_i32 s36, s37, 2
	v_add_u32_e32 v3, 0x780, v3
	s_or_b64 s[30:31], vcc, s[30:31]
	v_mov_b32_e32 v4, s22
	s_andn2_b64 exec, exec, s[30:31]
	s_cbranch_execz .LBB3_23
.LBB3_7:                                ;   Parent Loop BB3_3 Depth=1
                                        ; =>  This Inner Loop Header: Depth=2
	s_or_b32 s22, s36, 1
	v_cmp_le_u32_e32 vcc, s22, v1
	v_cmp_le_u32_e64 s[22:23], s36, v12
	s_and_saveexec_b64 s[34:35], s[22:23]
	s_cbranch_execz .LBB3_9
; %bb.8:                                ;   in Loop: Header=BB3_7 Depth=2
	ds_write_b32 v3, v20
.LBB3_9:                                ;   in Loop: Header=BB3_7 Depth=2
	s_or_b64 exec, exec, s[34:35]
	s_and_saveexec_b64 s[22:23], vcc
	s_cbranch_execz .LBB3_11
; %bb.10:                               ;   in Loop: Header=BB3_7 Depth=2
	ds_write_b32 v3, v20 offset:240
.LBB3_11:                               ;   in Loop: Header=BB3_7 Depth=2
	s_or_b64 exec, exec, s[22:23]
	s_add_i32 s37, s36, 2
	s_add_i32 s22, s36, 3
	v_cmp_le_u32_e32 vcc, s22, v1
	v_cmp_le_u32_e64 s[22:23], s37, v12
	s_and_saveexec_b64 s[34:35], s[22:23]
	s_cbranch_execz .LBB3_13
; %bb.12:                               ;   in Loop: Header=BB3_7 Depth=2
	ds_write_b32 v3, v20 offset:480
.LBB3_13:                               ;   in Loop: Header=BB3_7 Depth=2
	s_or_b64 exec, exec, s[34:35]
	s_and_saveexec_b64 s[22:23], vcc
	s_cbranch_execz .LBB3_15
; %bb.14:                               ;   in Loop: Header=BB3_7 Depth=2
	ds_write_b32 v3, v20 offset:720
.LBB3_15:                               ;   in Loop: Header=BB3_7 Depth=2
	s_or_b64 exec, exec, s[22:23]
	s_add_i32 s38, s37, 2
	s_add_i32 s37, s37, 3
	v_cmp_le_u32_e32 vcc, s37, v1
	v_cmp_le_u32_e64 s[22:23], s38, v12
	s_and_saveexec_b64 s[34:35], s[22:23]
	s_cbranch_execz .LBB3_17
; %bb.16:                               ;   in Loop: Header=BB3_7 Depth=2
	ds_write_b32 v3, v20 offset:960
.LBB3_17:                               ;   in Loop: Header=BB3_7 Depth=2
	;; [unrolled: 16-line block ×3, first 2 shown]
	s_or_b64 exec, exec, s[34:35]
	s_and_saveexec_b64 s[22:23], vcc
	s_cbranch_execz .LBB3_6
; %bb.22:                               ;   in Loop: Header=BB3_7 Depth=2
	ds_write_b32 v3, v20 offset:1680
	s_branch .LBB3_6
.LBB3_23:                               ;   in Loop: Header=BB3_3 Depth=1
	s_or_b64 exec, exec, s[30:31]
.LBB3_24:                               ;   in Loop: Header=BB3_3 Depth=1
	s_or_b64 exec, exec, s[28:29]
	s_and_b64 exec, exec, s[20:21]
	s_cbranch_execz .LBB3_31
; %bb.25:                               ;   in Loop: Header=BB3_3 Depth=1
	v_mad_u64_u32 v[2:3], s[22:23], v4, s33, v[14:15]
	s_mov_b64 s[28:29], 0
	v_mov_b32_e32 v3, v19
	s_branch .LBB3_27
.LBB3_26:                               ;   in Loop: Header=BB3_27 Depth=2
	s_or_b64 exec, exec, s[22:23]
	v_add_u32_e32 v3, 0xffffff10, v3
	v_cmp_eq_u32_e32 vcc, 0, v3
	v_add_u32_e32 v4, 2, v4
	s_or_b64 s[28:29], vcc, s[28:29]
	v_add_u32_e32 v2, 0x1e0, v2
	s_andn2_b64 exec, exec, s[28:29]
	s_cbranch_execz .LBB3_31
.LBB3_27:                               ;   Parent Loop BB3_3 Depth=1
                                        ; =>  This Inner Loop Header: Depth=2
	v_or_b32_e32 v5, 1, v4
	v_cmp_le_u32_e32 vcc, v5, v1
	v_cmp_le_u32_e64 s[22:23], v4, v12
	s_and_saveexec_b64 s[30:31], s[22:23]
	s_cbranch_execz .LBB3_29
; %bb.28:                               ;   in Loop: Header=BB3_27 Depth=2
	ds_write_b32 v2, v20
.LBB3_29:                               ;   in Loop: Header=BB3_27 Depth=2
	s_or_b64 exec, exec, s[30:31]
	s_and_saveexec_b64 s[22:23], vcc
	s_cbranch_execz .LBB3_26
; %bb.30:                               ;   in Loop: Header=BB3_27 Depth=2
	ds_write_b32 v2, v20 offset:240
	s_branch .LBB3_26
.LBB3_31:                               ;   in Loop: Header=BB3_3 Depth=1
	s_or_b64 exec, exec, s[24:25]
	s_sub_i32 s22, s27, s26
	s_min_u32 s22, s22, 4
	v_lshrrev_b32_sdwa v2, s26, v22 dst_sel:DWORD dst_unused:UNUSED_PAD src0_sel:DWORD src1_sel:WORD_0
	v_bfe_u32 v2, v2, 0, s22
	v_and_b32_e32 v3, 7, v2
	v_mul_u32_u24_e32 v3, 60, v3
	v_lshrrev_b32_e32 v2, 3, v2
	v_add_lshl_u32 v3, v3, v0, 1
	v_add_lshl_u32 v24, v3, v2, 1
	ds_read_u16 v23, v24
	s_waitcnt lgkmcnt(0)
	v_add_u16_e32 v2, 1, v23
	ds_write_b16 v24, v2
	s_waitcnt lgkmcnt(0)
	; wave barrier
	s_waitcnt lgkmcnt(0)
	ds_read2_b64 v[6:9], v13 offset1:1
	ds_read2_b64 v[2:5], v13 offset0:2 offset1:3
	s_waitcnt lgkmcnt(1)
	v_add_u32_e32 v25, v7, v6
	v_add3_u32 v25, v25, v8, v9
	s_waitcnt lgkmcnt(0)
	v_add3_u32 v25, v25, v2, v3
	v_add3_u32 v5, v25, v4, v5
	s_nop 1
	v_mov_b32_dpp v25, v5 row_shr:1 row_mask:0xf bank_mask:0xf
	v_cndmask_b32_e64 v25, v25, 0, s[14:15]
	v_add_u32_e32 v5, v25, v5
	s_nop 1
	v_mov_b32_dpp v25, v5 row_shr:2 row_mask:0xf bank_mask:0xf
	v_cndmask_b32_e64 v25, 0, v25, s[12:13]
	v_add_u32_e32 v5, v5, v25
	;; [unrolled: 4-line block ×4, first 2 shown]
	s_nop 1
	v_mov_b32_dpp v25, v5 row_bcast:15 row_mask:0xf bank_mask:0xf
	v_cndmask_b32_e64 v25, v25, 0, s[6:7]
	v_add_u32_e32 v5, v5, v25
	s_nop 1
	v_mov_b32_dpp v25, v5 row_bcast:31 row_mask:0xf bank_mask:0xf
	v_cndmask_b32_e64 v25, 0, v25, s[4:5]
	v_add_u32_e32 v5, v5, v25
	s_and_saveexec_b64 s[22:23], s[2:3]
	s_cbranch_execz .LBB3_33
; %bb.32:                               ;   in Loop: Header=BB3_3 Depth=1
	ds_write_b32 v20, v5 offset:1920
.LBB3_33:                               ;   in Loop: Header=BB3_3 Depth=1
	s_or_b64 exec, exec, s[22:23]
	ds_bpermute_b32 v5, v16, v5
	s_waitcnt lgkmcnt(0)
	; wave barrier
	s_waitcnt lgkmcnt(0)
	ds_read_b32 v25, v20 offset:1920
	s_add_i32 s26, s26, 4
	v_cndmask_b32_e64 v5, v5, 0, s[0:1]
	s_cmp_ge_u32 s26, s27
	s_waitcnt lgkmcnt(0)
	v_lshl_add_u32 v26, v25, 16, v5
	v_add_u32_e32 v27, v26, v6
	v_add_u32_e32 v6, v27, v7
	;; [unrolled: 1-line block ×7, first 2 shown]
	ds_write2_b64 v13, v[26:27], v[6:7] offset1:1
	ds_write2_b64 v13, v[8:9], v[2:3] offset0:2 offset1:3
	s_waitcnt lgkmcnt(0)
	; wave barrier
	s_waitcnt lgkmcnt(0)
	ds_read_u16 v2, v24
	v_lshlrev_b32_sdwa v3, v21, v23 dst_sel:DWORD dst_unused:UNUSED_PAD src0_sel:DWORD src1_sel:WORD_0
	s_waitcnt lgkmcnt(0)
	v_lshl_add_u32 v2, v2, 1, v3
	s_cbranch_scc0 .LBB3_2
; %bb.34:
                                        ; implicit-def: $vgpr3
.LBB3_35:
	s_mov_b64 s[18:19], 0
	; wave barrier
	ds_write_b16 v2, v22
	s_waitcnt lgkmcnt(0)
	; wave barrier
.LBB3_36:
	s_and_b64 vcc, exec, s[18:19]
	s_cbranch_vccz .LBB3_158
; %bb.37:
	s_and_saveexec_b64 s[20:21], s[16:17]
	s_cbranch_execz .LBB3_65
; %bb.38:
	s_movk_i32 s18, 0x1a4
	v_mov_b32_e32 v1, 0x1a4
	v_cmp_gt_u32_e32 vcc, s18, v0
	v_subb_co_u32_e64 v1, s[18:19], v1, v0, vcc
	s_mov_b32 s18, 0x4444445
	v_mul_hi_u32 v2, v1, s18
	v_cndmask_b32_e64 v3, 0, 1, vcc
	v_addc_co_u32_e64 v1, s[18:19], 0, v2, vcc
	v_add_u16_e32 v2, v2, v3
	v_lshrrev_b16_e32 v2, 1, v2
	s_mov_b32 s28, 0
	v_mov_b32_e32 v6, 0
	v_add_u32_e32 v2, 1, v2
	v_cmp_lt_u32_e32 vcc, 5, v1
	s_and_saveexec_b64 s[22:23], vcc
	s_cbranch_execz .LBB3_58
; %bb.39:
	v_and_b32_e32 v3, 0xfffc, v2
	v_lshlrev_b32_e32 v4, 2, v0
	s_mov_b64 s[24:25], 0
	v_mov_b32_e32 v5, 0
	s_branch .LBB3_41
.LBB3_40:                               ;   in Loop: Header=BB3_41 Depth=1
	s_or_b64 exec, exec, s[18:19]
	v_add_u32_e32 v3, -4, v3
	s_add_i32 s18, s28, 8
	v_cmp_eq_u32_e32 vcc, 0, v3
	s_add_i32 s28, s29, 2
	v_add_u32_e32 v4, 0x780, v4
	s_or_b64 s[24:25], vcc, s[24:25]
	v_mov_b32_e32 v6, s18
	s_andn2_b64 exec, exec, s[24:25]
	s_cbranch_execz .LBB3_57
.LBB3_41:                               ; =>This Inner Loop Header: Depth=1
	s_or_b32 s18, s28, 1
	v_cmp_le_u32_e32 vcc, s18, v1
	v_cmp_le_u32_e64 s[18:19], s28, v1
	s_and_saveexec_b64 s[26:27], s[18:19]
	s_cbranch_execz .LBB3_43
; %bb.42:                               ;   in Loop: Header=BB3_41 Depth=1
	ds_write_b32 v4, v5
.LBB3_43:                               ;   in Loop: Header=BB3_41 Depth=1
	s_or_b64 exec, exec, s[26:27]
	s_and_saveexec_b64 s[18:19], vcc
	s_cbranch_execz .LBB3_45
; %bb.44:                               ;   in Loop: Header=BB3_41 Depth=1
	ds_write_b32 v4, v5 offset:240
.LBB3_45:                               ;   in Loop: Header=BB3_41 Depth=1
	s_or_b64 exec, exec, s[18:19]
	s_add_i32 s29, s28, 2
	s_add_i32 s18, s28, 3
	v_cmp_le_u32_e32 vcc, s18, v1
	v_cmp_le_u32_e64 s[18:19], s29, v1
	s_and_saveexec_b64 s[26:27], s[18:19]
	s_cbranch_execz .LBB3_47
; %bb.46:                               ;   in Loop: Header=BB3_41 Depth=1
	ds_write_b32 v4, v5 offset:480
.LBB3_47:                               ;   in Loop: Header=BB3_41 Depth=1
	s_or_b64 exec, exec, s[26:27]
	s_and_saveexec_b64 s[18:19], vcc
	s_cbranch_execz .LBB3_49
; %bb.48:                               ;   in Loop: Header=BB3_41 Depth=1
	ds_write_b32 v4, v5 offset:720
.LBB3_49:                               ;   in Loop: Header=BB3_41 Depth=1
	s_or_b64 exec, exec, s[18:19]
	s_add_i32 s30, s29, 2
	s_add_i32 s29, s29, 3
	v_cmp_le_u32_e32 vcc, s29, v1
	v_cmp_le_u32_e64 s[18:19], s30, v1
	s_and_saveexec_b64 s[26:27], s[18:19]
	s_cbranch_execz .LBB3_51
; %bb.50:                               ;   in Loop: Header=BB3_41 Depth=1
	ds_write_b32 v4, v5 offset:960
.LBB3_51:                               ;   in Loop: Header=BB3_41 Depth=1
	;; [unrolled: 16-line block ×3, first 2 shown]
	s_or_b64 exec, exec, s[26:27]
	s_and_saveexec_b64 s[18:19], vcc
	s_cbranch_execz .LBB3_40
; %bb.56:                               ;   in Loop: Header=BB3_41 Depth=1
	ds_write_b32 v4, v5 offset:1680
	s_branch .LBB3_40
.LBB3_57:
	s_or_b64 exec, exec, s[24:25]
.LBB3_58:
	s_or_b64 exec, exec, s[22:23]
	v_and_b32_e32 v3, 3, v2
	v_cmp_ne_u32_e32 vcc, 0, v3
	s_and_b64 exec, exec, vcc
	s_cbranch_execz .LBB3_65
; %bb.59:
	s_movk_i32 s18, 0xf0
	v_mul_lo_u32 v2, v6, s18
	v_lshl_add_u32 v2, v0, 2, v2
	v_mul_u32_u24_e32 v3, 0xf0, v3
	s_mov_b64 s[22:23], 0
	v_mov_b32_e32 v4, 0
	s_branch .LBB3_61
.LBB3_60:                               ;   in Loop: Header=BB3_61 Depth=1
	s_or_b64 exec, exec, s[18:19]
	v_add_u32_e32 v3, 0xffffff10, v3
	v_cmp_eq_u32_e32 vcc, 0, v3
	v_add_u32_e32 v6, 2, v6
	s_or_b64 s[22:23], vcc, s[22:23]
	v_add_u32_e32 v2, 0x1e0, v2
	s_andn2_b64 exec, exec, s[22:23]
	s_cbranch_execz .LBB3_65
.LBB3_61:                               ; =>This Inner Loop Header: Depth=1
	v_or_b32_e32 v5, 1, v6
	v_cmp_le_u32_e32 vcc, v5, v1
	v_cmp_le_u32_e64 s[18:19], v6, v1
	s_and_saveexec_b64 s[24:25], s[18:19]
	s_cbranch_execz .LBB3_63
; %bb.62:                               ;   in Loop: Header=BB3_61 Depth=1
	ds_write_b32 v2, v4
.LBB3_63:                               ;   in Loop: Header=BB3_61 Depth=1
	s_or_b64 exec, exec, s[24:25]
	s_and_saveexec_b64 s[18:19], vcc
	s_cbranch_execz .LBB3_60
; %bb.64:                               ;   in Loop: Header=BB3_61 Depth=1
	ds_write_b32 v2, v4 offset:240
	s_branch .LBB3_60
.LBB3_65:
	s_or_b64 exec, exec, s[20:21]
	v_and_b32_e32 v1, 15, v17
	v_mov_b32_e32 v2, 7
	v_mov_b32_e32 v3, 2
	v_and_b32_sdwa v2, v1, v2 dst_sel:DWORD dst_unused:UNUSED_PAD src0_sel:WORD_0 src1_sel:DWORD
	v_lshrrev_b32_sdwa v1, v3, v1 dst_sel:DWORD dst_unused:UNUSED_PAD src0_sel:DWORD src1_sel:WORD_0
	v_mad_u32_u24 v2, v2, 60, v0
	v_and_b32_e32 v1, 2, v1
	v_lshl_or_b32 v12, v2, 2, v1
	ds_read_u16 v1, v12
	s_waitcnt lgkmcnt(0)
	v_add_u16_e32 v2, 1, v1
	ds_write_b16 v12, v2
	s_waitcnt lgkmcnt(0)
	; wave barrier
	s_waitcnt lgkmcnt(0)
	ds_read2_b64 v[6:9], v13 offset1:1
	ds_read2_b64 v[2:5], v13 offset0:2 offset1:3
	s_waitcnt lgkmcnt(1)
	v_add_u32_e32 v14, v7, v6
	v_add3_u32 v14, v14, v8, v9
	s_waitcnt lgkmcnt(0)
	v_add3_u32 v14, v14, v2, v3
	v_add3_u32 v5, v14, v4, v5
	s_nop 1
	v_mov_b32_dpp v14, v5 row_shr:1 row_mask:0xf bank_mask:0xf
	v_cndmask_b32_e64 v14, v14, 0, s[14:15]
	v_add_u32_e32 v5, v14, v5
	s_nop 1
	v_mov_b32_dpp v14, v5 row_shr:2 row_mask:0xf bank_mask:0xf
	v_cndmask_b32_e64 v14, 0, v14, s[12:13]
	v_add_u32_e32 v5, v5, v14
	;; [unrolled: 4-line block ×4, first 2 shown]
	s_nop 1
	v_mov_b32_dpp v14, v5 row_bcast:15 row_mask:0xf bank_mask:0xf
	v_cndmask_b32_e64 v14, v14, 0, s[6:7]
	v_add_u32_e32 v5, v5, v14
	s_nop 1
	v_mov_b32_dpp v14, v5 row_bcast:31 row_mask:0xf bank_mask:0xf
	v_cndmask_b32_e64 v14, 0, v14, s[4:5]
	v_add_u32_e32 v5, v5, v14
	s_and_saveexec_b64 s[18:19], s[2:3]
	s_cbranch_execz .LBB3_67
; %bb.66:
	v_mov_b32_e32 v14, 0
	ds_write_b32 v14, v5 offset:1920
.LBB3_67:
	s_or_b64 exec, exec, s[18:19]
	ds_bpermute_b32 v14, v16, v5
	v_mov_b32_e32 v5, 0
	s_waitcnt lgkmcnt(0)
	; wave barrier
	s_waitcnt lgkmcnt(0)
	ds_read_b32 v18, v5 offset:1920
	v_cndmask_b32_e64 v14, v14, 0, s[0:1]
	s_waitcnt lgkmcnt(0)
	v_lshl_add_u32 v18, v18, 16, v14
	v_add_u32_e32 v19, v18, v6
	v_add_u32_e32 v6, v19, v7
	;; [unrolled: 1-line block ×7, first 2 shown]
	ds_write2_b64 v13, v[18:19], v[6:7] offset1:1
	ds_write2_b64 v13, v[8:9], v[2:3] offset0:2 offset1:3
	s_waitcnt lgkmcnt(0)
	; wave barrier
	s_waitcnt lgkmcnt(0)
	ds_read_u16 v2, v12
	v_mov_b32_e32 v3, 1
	v_lshlrev_b32_sdwa v1, v3, v1 dst_sel:DWORD dst_unused:UNUSED_PAD src0_sel:DWORD src1_sel:WORD_0
	s_waitcnt lgkmcnt(0)
	; wave barrier
	s_waitcnt lgkmcnt(0)
	v_lshl_add_u32 v1, v2, 1, v1
	ds_write_b16 v1, v17
	v_add_u32_e32 v1, v13, v15
	s_waitcnt lgkmcnt(0)
	; wave barrier
	s_waitcnt lgkmcnt(0)
	ds_read_u16 v12, v1
	s_waitcnt lgkmcnt(0)
	; wave barrier
	s_waitcnt lgkmcnt(0)
	s_and_saveexec_b64 s[20:21], s[16:17]
	s_cbranch_execz .LBB3_95
; %bb.68:
	s_movk_i32 s18, 0x1a4
	v_mov_b32_e32 v2, 0x1a4
	v_cmp_gt_u32_e32 vcc, s18, v0
	v_subb_co_u32_e64 v2, s[18:19], v2, v0, vcc
	s_mov_b32 s18, 0x4444445
	v_mul_hi_u32 v3, v2, s18
	v_cndmask_b32_e64 v4, 0, 1, vcc
	v_addc_co_u32_e64 v2, s[18:19], 0, v3, vcc
	v_add_u16_e32 v3, v3, v4
	v_lshrrev_b16_e32 v3, 1, v3
	s_mov_b32 s28, 0
	v_add_u32_e32 v3, 1, v3
	v_cmp_lt_u32_e32 vcc, 5, v2
	s_and_saveexec_b64 s[22:23], vcc
	s_cbranch_execz .LBB3_88
; %bb.69:
	v_and_b32_e32 v4, 0xfffc, v3
	v_lshlrev_b32_e32 v6, 2, v0
	s_mov_b64 s[24:25], 0
	v_mov_b32_e32 v7, 0
	s_branch .LBB3_71
.LBB3_70:                               ;   in Loop: Header=BB3_71 Depth=1
	s_or_b64 exec, exec, s[18:19]
	v_add_u32_e32 v4, -4, v4
	s_add_i32 s18, s28, 8
	v_cmp_eq_u32_e32 vcc, 0, v4
	s_add_i32 s28, s29, 2
	v_add_u32_e32 v6, 0x780, v6
	s_or_b64 s[24:25], vcc, s[24:25]
	v_mov_b32_e32 v5, s18
	s_andn2_b64 exec, exec, s[24:25]
	s_cbranch_execz .LBB3_87
.LBB3_71:                               ; =>This Inner Loop Header: Depth=1
	s_or_b32 s18, s28, 1
	v_cmp_le_u32_e32 vcc, s18, v2
	v_cmp_le_u32_e64 s[18:19], s28, v2
	s_and_saveexec_b64 s[26:27], s[18:19]
	s_cbranch_execz .LBB3_73
; %bb.72:                               ;   in Loop: Header=BB3_71 Depth=1
	ds_write_b32 v6, v7
.LBB3_73:                               ;   in Loop: Header=BB3_71 Depth=1
	s_or_b64 exec, exec, s[26:27]
	s_and_saveexec_b64 s[18:19], vcc
	s_cbranch_execz .LBB3_75
; %bb.74:                               ;   in Loop: Header=BB3_71 Depth=1
	ds_write_b32 v6, v7 offset:240
.LBB3_75:                               ;   in Loop: Header=BB3_71 Depth=1
	s_or_b64 exec, exec, s[18:19]
	s_add_i32 s29, s28, 2
	s_add_i32 s18, s28, 3
	v_cmp_le_u32_e32 vcc, s18, v2
	v_cmp_le_u32_e64 s[18:19], s29, v2
	s_and_saveexec_b64 s[26:27], s[18:19]
	s_cbranch_execz .LBB3_77
; %bb.76:                               ;   in Loop: Header=BB3_71 Depth=1
	ds_write_b32 v6, v7 offset:480
.LBB3_77:                               ;   in Loop: Header=BB3_71 Depth=1
	s_or_b64 exec, exec, s[26:27]
	s_and_saveexec_b64 s[18:19], vcc
	s_cbranch_execz .LBB3_79
; %bb.78:                               ;   in Loop: Header=BB3_71 Depth=1
	ds_write_b32 v6, v7 offset:720
.LBB3_79:                               ;   in Loop: Header=BB3_71 Depth=1
	s_or_b64 exec, exec, s[18:19]
	s_add_i32 s30, s29, 2
	s_add_i32 s29, s29, 3
	v_cmp_le_u32_e32 vcc, s29, v2
	v_cmp_le_u32_e64 s[18:19], s30, v2
	s_and_saveexec_b64 s[26:27], s[18:19]
	s_cbranch_execz .LBB3_81
; %bb.80:                               ;   in Loop: Header=BB3_71 Depth=1
	ds_write_b32 v6, v7 offset:960
.LBB3_81:                               ;   in Loop: Header=BB3_71 Depth=1
	;; [unrolled: 16-line block ×3, first 2 shown]
	s_or_b64 exec, exec, s[26:27]
	s_and_saveexec_b64 s[18:19], vcc
	s_cbranch_execz .LBB3_70
; %bb.86:                               ;   in Loop: Header=BB3_71 Depth=1
	ds_write_b32 v6, v7 offset:1680
	s_branch .LBB3_70
.LBB3_87:
	s_or_b64 exec, exec, s[24:25]
.LBB3_88:
	s_or_b64 exec, exec, s[22:23]
	v_and_b32_e32 v4, 3, v3
	v_cmp_ne_u32_e32 vcc, 0, v4
	s_and_b64 exec, exec, vcc
	s_cbranch_execz .LBB3_95
; %bb.89:
	s_movk_i32 s18, 0xf0
	v_mul_lo_u32 v3, v5, s18
	v_lshl_add_u32 v3, v0, 2, v3
	v_mul_u32_u24_e32 v4, 0xf0, v4
	s_mov_b64 s[22:23], 0
	v_mov_b32_e32 v6, 0
	s_branch .LBB3_91
.LBB3_90:                               ;   in Loop: Header=BB3_91 Depth=1
	s_or_b64 exec, exec, s[18:19]
	v_add_u32_e32 v4, 0xffffff10, v4
	v_cmp_eq_u32_e32 vcc, 0, v4
	v_add_u32_e32 v5, 2, v5
	s_or_b64 s[22:23], vcc, s[22:23]
	v_add_u32_e32 v3, 0x1e0, v3
	s_andn2_b64 exec, exec, s[22:23]
	s_cbranch_execz .LBB3_95
.LBB3_91:                               ; =>This Inner Loop Header: Depth=1
	v_or_b32_e32 v7, 1, v5
	v_cmp_le_u32_e32 vcc, v7, v2
	v_cmp_le_u32_e64 s[18:19], v5, v2
	s_and_saveexec_b64 s[24:25], s[18:19]
	s_cbranch_execz .LBB3_93
; %bb.92:                               ;   in Loop: Header=BB3_91 Depth=1
	ds_write_b32 v3, v6
.LBB3_93:                               ;   in Loop: Header=BB3_91 Depth=1
	s_or_b64 exec, exec, s[24:25]
	s_and_saveexec_b64 s[18:19], vcc
	s_cbranch_execz .LBB3_90
; %bb.94:                               ;   in Loop: Header=BB3_91 Depth=1
	ds_write_b32 v3, v6 offset:240
	s_branch .LBB3_90
.LBB3_95:
	s_or_b64 exec, exec, s[20:21]
	v_lshrrev_b16_e32 v2, 4, v12
	v_and_b32_e32 v2, 15, v2
	v_mov_b32_e32 v3, 7
	v_mov_b32_e32 v4, 2
	v_and_b32_sdwa v3, v2, v3 dst_sel:DWORD dst_unused:UNUSED_PAD src0_sel:WORD_0 src1_sel:DWORD
	v_lshrrev_b32_sdwa v2, v4, v2 dst_sel:DWORD dst_unused:UNUSED_PAD src0_sel:DWORD src1_sel:WORD_0
	v_mad_u32_u24 v3, v3, 60, v0
	v_and_b32_e32 v2, 2, v2
	v_lshl_or_b32 v17, v3, 2, v2
	ds_read_u16 v14, v17
	s_waitcnt lgkmcnt(0)
	v_add_u16_e32 v2, 1, v14
	ds_write_b16 v17, v2
	s_waitcnt lgkmcnt(0)
	; wave barrier
	s_waitcnt lgkmcnt(0)
	ds_read2_b64 v[6:9], v13 offset1:1
	ds_read2_b64 v[2:5], v13 offset0:2 offset1:3
	s_waitcnt lgkmcnt(1)
	v_add_u32_e32 v18, v7, v6
	v_add3_u32 v18, v18, v8, v9
	s_waitcnt lgkmcnt(0)
	v_add3_u32 v18, v18, v2, v3
	v_add3_u32 v5, v18, v4, v5
	s_nop 1
	v_mov_b32_dpp v18, v5 row_shr:1 row_mask:0xf bank_mask:0xf
	v_cndmask_b32_e64 v18, v18, 0, s[14:15]
	v_add_u32_e32 v5, v18, v5
	s_nop 1
	v_mov_b32_dpp v18, v5 row_shr:2 row_mask:0xf bank_mask:0xf
	v_cndmask_b32_e64 v18, 0, v18, s[12:13]
	v_add_u32_e32 v5, v5, v18
	;; [unrolled: 4-line block ×4, first 2 shown]
	s_nop 1
	v_mov_b32_dpp v18, v5 row_bcast:15 row_mask:0xf bank_mask:0xf
	v_cndmask_b32_e64 v18, v18, 0, s[6:7]
	v_add_u32_e32 v5, v5, v18
	s_nop 1
	v_mov_b32_dpp v18, v5 row_bcast:31 row_mask:0xf bank_mask:0xf
	v_cndmask_b32_e64 v18, 0, v18, s[4:5]
	v_add_u32_e32 v5, v5, v18
	s_and_saveexec_b64 s[18:19], s[2:3]
	s_cbranch_execz .LBB3_97
; %bb.96:
	v_mov_b32_e32 v18, 0
	ds_write_b32 v18, v5 offset:1920
.LBB3_97:
	s_or_b64 exec, exec, s[18:19]
	ds_bpermute_b32 v18, v16, v5
	v_mov_b32_e32 v5, 0
	s_waitcnt lgkmcnt(0)
	; wave barrier
	s_waitcnt lgkmcnt(0)
	ds_read_b32 v19, v5 offset:1920
	v_cndmask_b32_e64 v18, v18, 0, s[0:1]
	s_waitcnt lgkmcnt(0)
	v_lshl_add_u32 v18, v19, 16, v18
	v_add_u32_e32 v19, v18, v6
	v_add_u32_e32 v6, v19, v7
	;; [unrolled: 1-line block ×7, first 2 shown]
	ds_write2_b64 v13, v[18:19], v[6:7] offset1:1
	ds_write2_b64 v13, v[8:9], v[2:3] offset0:2 offset1:3
	s_waitcnt lgkmcnt(0)
	; wave barrier
	s_waitcnt lgkmcnt(0)
	ds_read_u16 v2, v17
	v_mov_b32_e32 v3, 1
	v_lshlrev_b32_sdwa v3, v3, v14 dst_sel:DWORD dst_unused:UNUSED_PAD src0_sel:DWORD src1_sel:WORD_0
	s_waitcnt lgkmcnt(0)
	; wave barrier
	s_waitcnt lgkmcnt(0)
	v_lshl_add_u32 v2, v2, 1, v3
	ds_write_b16 v2, v12
	s_waitcnt lgkmcnt(0)
	; wave barrier
	s_waitcnt lgkmcnt(0)
	ds_read_u16 v12, v1
	s_waitcnt lgkmcnt(0)
	; wave barrier
	s_waitcnt lgkmcnt(0)
	s_and_saveexec_b64 s[20:21], s[16:17]
	s_cbranch_execz .LBB3_125
; %bb.98:
	s_movk_i32 s18, 0x1a4
	v_mov_b32_e32 v2, 0x1a4
	v_cmp_gt_u32_e32 vcc, s18, v0
	v_subb_co_u32_e64 v2, s[18:19], v2, v0, vcc
	s_mov_b32 s18, 0x4444445
	v_mul_hi_u32 v3, v2, s18
	v_cndmask_b32_e64 v4, 0, 1, vcc
	v_addc_co_u32_e64 v2, s[18:19], 0, v3, vcc
	v_add_u16_e32 v3, v3, v4
	v_lshrrev_b16_e32 v3, 1, v3
	s_mov_b32 s28, 0
	v_add_u32_e32 v3, 1, v3
	v_cmp_lt_u32_e32 vcc, 5, v2
	s_and_saveexec_b64 s[22:23], vcc
	s_cbranch_execz .LBB3_118
; %bb.99:
	v_and_b32_e32 v4, 0xfffc, v3
	v_lshlrev_b32_e32 v6, 2, v0
	s_mov_b64 s[24:25], 0
	v_mov_b32_e32 v7, 0
	s_branch .LBB3_101
.LBB3_100:                              ;   in Loop: Header=BB3_101 Depth=1
	s_or_b64 exec, exec, s[18:19]
	v_add_u32_e32 v4, -4, v4
	s_add_i32 s18, s28, 8
	v_cmp_eq_u32_e32 vcc, 0, v4
	s_add_i32 s28, s29, 2
	v_add_u32_e32 v6, 0x780, v6
	s_or_b64 s[24:25], vcc, s[24:25]
	v_mov_b32_e32 v5, s18
	s_andn2_b64 exec, exec, s[24:25]
	s_cbranch_execz .LBB3_117
.LBB3_101:                              ; =>This Inner Loop Header: Depth=1
	s_or_b32 s18, s28, 1
	v_cmp_le_u32_e32 vcc, s18, v2
	v_cmp_le_u32_e64 s[18:19], s28, v2
	s_and_saveexec_b64 s[26:27], s[18:19]
	s_cbranch_execz .LBB3_103
; %bb.102:                              ;   in Loop: Header=BB3_101 Depth=1
	ds_write_b32 v6, v7
.LBB3_103:                              ;   in Loop: Header=BB3_101 Depth=1
	s_or_b64 exec, exec, s[26:27]
	s_and_saveexec_b64 s[18:19], vcc
	s_cbranch_execz .LBB3_105
; %bb.104:                              ;   in Loop: Header=BB3_101 Depth=1
	ds_write_b32 v6, v7 offset:240
.LBB3_105:                              ;   in Loop: Header=BB3_101 Depth=1
	s_or_b64 exec, exec, s[18:19]
	s_add_i32 s29, s28, 2
	s_add_i32 s18, s28, 3
	v_cmp_le_u32_e32 vcc, s18, v2
	v_cmp_le_u32_e64 s[18:19], s29, v2
	s_and_saveexec_b64 s[26:27], s[18:19]
	s_cbranch_execz .LBB3_107
; %bb.106:                              ;   in Loop: Header=BB3_101 Depth=1
	ds_write_b32 v6, v7 offset:480
.LBB3_107:                              ;   in Loop: Header=BB3_101 Depth=1
	s_or_b64 exec, exec, s[26:27]
	s_and_saveexec_b64 s[18:19], vcc
	s_cbranch_execz .LBB3_109
; %bb.108:                              ;   in Loop: Header=BB3_101 Depth=1
	ds_write_b32 v6, v7 offset:720
.LBB3_109:                              ;   in Loop: Header=BB3_101 Depth=1
	s_or_b64 exec, exec, s[18:19]
	s_add_i32 s30, s29, 2
	s_add_i32 s29, s29, 3
	v_cmp_le_u32_e32 vcc, s29, v2
	v_cmp_le_u32_e64 s[18:19], s30, v2
	s_and_saveexec_b64 s[26:27], s[18:19]
	s_cbranch_execz .LBB3_111
; %bb.110:                              ;   in Loop: Header=BB3_101 Depth=1
	ds_write_b32 v6, v7 offset:960
.LBB3_111:                              ;   in Loop: Header=BB3_101 Depth=1
	;; [unrolled: 16-line block ×3, first 2 shown]
	s_or_b64 exec, exec, s[26:27]
	s_and_saveexec_b64 s[18:19], vcc
	s_cbranch_execz .LBB3_100
; %bb.116:                              ;   in Loop: Header=BB3_101 Depth=1
	ds_write_b32 v6, v7 offset:1680
	s_branch .LBB3_100
.LBB3_117:
	s_or_b64 exec, exec, s[24:25]
.LBB3_118:
	s_or_b64 exec, exec, s[22:23]
	v_and_b32_e32 v4, 3, v3
	v_cmp_ne_u32_e32 vcc, 0, v4
	s_and_b64 exec, exec, vcc
	s_cbranch_execz .LBB3_125
; %bb.119:
	s_movk_i32 s18, 0xf0
	v_mul_lo_u32 v3, v5, s18
	v_lshl_add_u32 v3, v0, 2, v3
	v_mul_u32_u24_e32 v4, 0xf0, v4
	s_mov_b64 s[22:23], 0
	v_mov_b32_e32 v6, 0
	s_branch .LBB3_121
.LBB3_120:                              ;   in Loop: Header=BB3_121 Depth=1
	s_or_b64 exec, exec, s[18:19]
	v_add_u32_e32 v4, 0xffffff10, v4
	v_cmp_eq_u32_e32 vcc, 0, v4
	v_add_u32_e32 v5, 2, v5
	s_or_b64 s[22:23], vcc, s[22:23]
	v_add_u32_e32 v3, 0x1e0, v3
	s_andn2_b64 exec, exec, s[22:23]
	s_cbranch_execz .LBB3_125
.LBB3_121:                              ; =>This Inner Loop Header: Depth=1
	v_or_b32_e32 v7, 1, v5
	v_cmp_le_u32_e32 vcc, v7, v2
	v_cmp_le_u32_e64 s[18:19], v5, v2
	s_and_saveexec_b64 s[24:25], s[18:19]
	s_cbranch_execz .LBB3_123
; %bb.122:                              ;   in Loop: Header=BB3_121 Depth=1
	ds_write_b32 v3, v6
.LBB3_123:                              ;   in Loop: Header=BB3_121 Depth=1
	s_or_b64 exec, exec, s[24:25]
	s_and_saveexec_b64 s[18:19], vcc
	s_cbranch_execz .LBB3_120
; %bb.124:                              ;   in Loop: Header=BB3_121 Depth=1
	ds_write_b32 v3, v6 offset:240
	s_branch .LBB3_120
.LBB3_125:
	s_or_b64 exec, exec, s[20:21]
	v_mov_b32_e32 v2, 15
	v_and_b32_sdwa v2, v12, v2 dst_sel:DWORD dst_unused:UNUSED_PAD src0_sel:BYTE_1 src1_sel:DWORD
	v_mov_b32_e32 v3, 7
	v_mov_b32_e32 v4, 2
	v_and_b32_sdwa v3, v2, v3 dst_sel:DWORD dst_unused:UNUSED_PAD src0_sel:WORD_0 src1_sel:DWORD
	v_lshrrev_b32_sdwa v2, v4, v2 dst_sel:DWORD dst_unused:UNUSED_PAD src0_sel:DWORD src1_sel:WORD_0
	v_mad_u32_u24 v3, v3, 60, v0
	v_and_b32_e32 v2, 2, v2
	v_lshl_or_b32 v17, v3, 2, v2
	ds_read_u16 v14, v17
	s_waitcnt lgkmcnt(0)
	v_add_u16_e32 v2, 1, v14
	ds_write_b16 v17, v2
	s_waitcnt lgkmcnt(0)
	; wave barrier
	s_waitcnt lgkmcnt(0)
	ds_read2_b64 v[6:9], v13 offset1:1
	ds_read2_b64 v[2:5], v13 offset0:2 offset1:3
	s_waitcnt lgkmcnt(1)
	v_add_u32_e32 v18, v7, v6
	v_add3_u32 v18, v18, v8, v9
	s_waitcnt lgkmcnt(0)
	v_add3_u32 v18, v18, v2, v3
	v_add3_u32 v5, v18, v4, v5
	s_nop 1
	v_mov_b32_dpp v18, v5 row_shr:1 row_mask:0xf bank_mask:0xf
	v_cndmask_b32_e64 v18, v18, 0, s[14:15]
	v_add_u32_e32 v5, v18, v5
	s_nop 1
	v_mov_b32_dpp v18, v5 row_shr:2 row_mask:0xf bank_mask:0xf
	v_cndmask_b32_e64 v18, 0, v18, s[12:13]
	v_add_u32_e32 v5, v5, v18
	;; [unrolled: 4-line block ×4, first 2 shown]
	s_nop 1
	v_mov_b32_dpp v18, v5 row_bcast:15 row_mask:0xf bank_mask:0xf
	v_cndmask_b32_e64 v18, v18, 0, s[6:7]
	v_add_u32_e32 v5, v5, v18
	s_nop 1
	v_mov_b32_dpp v18, v5 row_bcast:31 row_mask:0xf bank_mask:0xf
	v_cndmask_b32_e64 v18, 0, v18, s[4:5]
	v_add_u32_e32 v5, v5, v18
	s_and_saveexec_b64 s[18:19], s[2:3]
	s_cbranch_execz .LBB3_127
; %bb.126:
	v_mov_b32_e32 v18, 0
	ds_write_b32 v18, v5 offset:1920
.LBB3_127:
	s_or_b64 exec, exec, s[18:19]
	ds_bpermute_b32 v18, v16, v5
	v_mov_b32_e32 v5, 0
	s_waitcnt lgkmcnt(0)
	; wave barrier
	s_waitcnt lgkmcnt(0)
	ds_read_b32 v19, v5 offset:1920
	v_cndmask_b32_e64 v18, v18, 0, s[0:1]
	s_waitcnt lgkmcnt(0)
	v_lshl_add_u32 v18, v19, 16, v18
	v_add_u32_e32 v19, v18, v6
	v_add_u32_e32 v6, v19, v7
	;; [unrolled: 1-line block ×7, first 2 shown]
	ds_write2_b64 v13, v[18:19], v[6:7] offset1:1
	ds_write2_b64 v13, v[8:9], v[2:3] offset0:2 offset1:3
	s_waitcnt lgkmcnt(0)
	; wave barrier
	s_waitcnt lgkmcnt(0)
	ds_read_u16 v2, v17
	v_mov_b32_e32 v3, 1
	v_lshlrev_b32_sdwa v3, v3, v14 dst_sel:DWORD dst_unused:UNUSED_PAD src0_sel:DWORD src1_sel:WORD_0
	s_waitcnt lgkmcnt(0)
	; wave barrier
	s_waitcnt lgkmcnt(0)
	v_lshl_add_u32 v2, v2, 1, v3
	ds_write_b16 v2, v12
	s_waitcnt lgkmcnt(0)
	; wave barrier
	s_waitcnt lgkmcnt(0)
	ds_read_u16 v8, v1
	s_waitcnt lgkmcnt(0)
	; wave barrier
	s_waitcnt lgkmcnt(0)
	s_and_saveexec_b64 s[18:19], s[16:17]
	s_cbranch_execz .LBB3_155
; %bb.128:
	s_movk_i32 s16, 0x1a4
	v_mov_b32_e32 v1, 0x1a4
	v_cmp_gt_u32_e32 vcc, s16, v0
	v_subb_co_u32_e64 v1, s[16:17], v1, v0, vcc
	s_mov_b32 s16, 0x4444445
	v_mul_hi_u32 v2, v1, s16
	v_cndmask_b32_e64 v3, 0, 1, vcc
	v_addc_co_u32_e64 v1, s[16:17], 0, v2, vcc
	v_add_u16_e32 v2, v2, v3
	v_lshrrev_b16_e32 v2, 1, v2
	s_mov_b32 s26, 0
	v_add_u32_e32 v2, 1, v2
	v_cmp_lt_u32_e32 vcc, 5, v1
	s_and_saveexec_b64 s[20:21], vcc
	s_cbranch_execz .LBB3_148
; %bb.129:
	v_and_b32_e32 v3, 0xfffc, v2
	v_lshlrev_b32_e32 v4, 2, v0
	s_mov_b64 s[22:23], 0
	v_mov_b32_e32 v6, 0
	s_branch .LBB3_131
.LBB3_130:                              ;   in Loop: Header=BB3_131 Depth=1
	s_or_b64 exec, exec, s[16:17]
	v_add_u32_e32 v3, -4, v3
	s_add_i32 s16, s26, 8
	v_cmp_eq_u32_e32 vcc, 0, v3
	s_add_i32 s26, s27, 2
	v_add_u32_e32 v4, 0x780, v4
	s_or_b64 s[22:23], vcc, s[22:23]
	v_mov_b32_e32 v5, s16
	s_andn2_b64 exec, exec, s[22:23]
	s_cbranch_execz .LBB3_147
.LBB3_131:                              ; =>This Inner Loop Header: Depth=1
	s_or_b32 s16, s26, 1
	v_cmp_le_u32_e32 vcc, s16, v1
	v_cmp_le_u32_e64 s[16:17], s26, v1
	s_and_saveexec_b64 s[24:25], s[16:17]
	s_cbranch_execz .LBB3_133
; %bb.132:                              ;   in Loop: Header=BB3_131 Depth=1
	ds_write_b32 v4, v6
.LBB3_133:                              ;   in Loop: Header=BB3_131 Depth=1
	s_or_b64 exec, exec, s[24:25]
	s_and_saveexec_b64 s[16:17], vcc
	s_cbranch_execz .LBB3_135
; %bb.134:                              ;   in Loop: Header=BB3_131 Depth=1
	ds_write_b32 v4, v6 offset:240
.LBB3_135:                              ;   in Loop: Header=BB3_131 Depth=1
	s_or_b64 exec, exec, s[16:17]
	s_add_i32 s27, s26, 2
	s_add_i32 s16, s26, 3
	v_cmp_le_u32_e32 vcc, s16, v1
	v_cmp_le_u32_e64 s[16:17], s27, v1
	s_and_saveexec_b64 s[24:25], s[16:17]
	s_cbranch_execz .LBB3_137
; %bb.136:                              ;   in Loop: Header=BB3_131 Depth=1
	ds_write_b32 v4, v6 offset:480
.LBB3_137:                              ;   in Loop: Header=BB3_131 Depth=1
	s_or_b64 exec, exec, s[24:25]
	s_and_saveexec_b64 s[16:17], vcc
	s_cbranch_execz .LBB3_139
; %bb.138:                              ;   in Loop: Header=BB3_131 Depth=1
	ds_write_b32 v4, v6 offset:720
.LBB3_139:                              ;   in Loop: Header=BB3_131 Depth=1
	s_or_b64 exec, exec, s[16:17]
	s_add_i32 s28, s27, 2
	s_add_i32 s27, s27, 3
	v_cmp_le_u32_e32 vcc, s27, v1
	v_cmp_le_u32_e64 s[16:17], s28, v1
	s_and_saveexec_b64 s[24:25], s[16:17]
	s_cbranch_execz .LBB3_141
; %bb.140:                              ;   in Loop: Header=BB3_131 Depth=1
	ds_write_b32 v4, v6 offset:960
.LBB3_141:                              ;   in Loop: Header=BB3_131 Depth=1
	;; [unrolled: 16-line block ×3, first 2 shown]
	s_or_b64 exec, exec, s[24:25]
	s_and_saveexec_b64 s[16:17], vcc
	s_cbranch_execz .LBB3_130
; %bb.146:                              ;   in Loop: Header=BB3_131 Depth=1
	ds_write_b32 v4, v6 offset:1680
	s_branch .LBB3_130
.LBB3_147:
	s_or_b64 exec, exec, s[22:23]
.LBB3_148:
	s_or_b64 exec, exec, s[20:21]
	v_and_b32_e32 v3, 3, v2
	v_cmp_ne_u32_e32 vcc, 0, v3
	s_and_b64 exec, exec, vcc
	s_cbranch_execz .LBB3_155
; %bb.149:
	s_movk_i32 s16, 0xf0
	v_mul_lo_u32 v2, v5, s16
	v_lshl_add_u32 v2, v0, 2, v2
	v_mul_u32_u24_e32 v3, 0xf0, v3
	s_mov_b64 s[20:21], 0
	v_mov_b32_e32 v4, 0
	s_branch .LBB3_151
.LBB3_150:                              ;   in Loop: Header=BB3_151 Depth=1
	s_or_b64 exec, exec, s[16:17]
	v_add_u32_e32 v3, 0xffffff10, v3
	v_cmp_eq_u32_e32 vcc, 0, v3
	v_add_u32_e32 v5, 2, v5
	s_or_b64 s[20:21], vcc, s[20:21]
	v_add_u32_e32 v2, 0x1e0, v2
	s_andn2_b64 exec, exec, s[20:21]
	s_cbranch_execz .LBB3_155
.LBB3_151:                              ; =>This Inner Loop Header: Depth=1
	v_or_b32_e32 v6, 1, v5
	v_cmp_le_u32_e32 vcc, v6, v1
	v_cmp_le_u32_e64 s[16:17], v5, v1
	s_and_saveexec_b64 s[22:23], s[16:17]
	s_cbranch_execz .LBB3_153
; %bb.152:                              ;   in Loop: Header=BB3_151 Depth=1
	ds_write_b32 v2, v4
.LBB3_153:                              ;   in Loop: Header=BB3_151 Depth=1
	s_or_b64 exec, exec, s[22:23]
	s_and_saveexec_b64 s[16:17], vcc
	s_cbranch_execz .LBB3_150
; %bb.154:                              ;   in Loop: Header=BB3_151 Depth=1
	ds_write_b32 v2, v4 offset:240
	s_branch .LBB3_150
.LBB3_155:
	s_or_b64 exec, exec, s[18:19]
	v_lshrrev_b16_e32 v1, 12, v8
	v_and_b32_e32 v2, 7, v1
	v_lshrrev_b32_e32 v1, 2, v1
	v_mad_u32_u24 v0, v2, 60, v0
	v_and_b32_e32 v1, 2, v1
	v_lshl_or_b32 v12, v0, 2, v1
	ds_read_u16 v9, v12
	s_waitcnt lgkmcnt(0)
	v_add_u16_e32 v0, 1, v9
	ds_write_b16 v12, v0
	s_waitcnt lgkmcnt(0)
	; wave barrier
	s_waitcnt lgkmcnt(0)
	ds_read2_b64 v[4:7], v13 offset1:1
	ds_read2_b64 v[0:3], v13 offset0:2 offset1:3
	s_waitcnt lgkmcnt(1)
	v_add_u32_e32 v14, v5, v4
	v_add3_u32 v14, v14, v6, v7
	s_waitcnt lgkmcnt(0)
	v_add3_u32 v14, v14, v0, v1
	v_add3_u32 v3, v14, v2, v3
	s_nop 1
	v_mov_b32_dpp v14, v3 row_shr:1 row_mask:0xf bank_mask:0xf
	v_cndmask_b32_e64 v14, v14, 0, s[14:15]
	v_add_u32_e32 v3, v14, v3
	s_nop 1
	v_mov_b32_dpp v14, v3 row_shr:2 row_mask:0xf bank_mask:0xf
	v_cndmask_b32_e64 v14, 0, v14, s[12:13]
	v_add_u32_e32 v3, v3, v14
	;; [unrolled: 4-line block ×4, first 2 shown]
	s_nop 1
	v_mov_b32_dpp v14, v3 row_bcast:15 row_mask:0xf bank_mask:0xf
	v_cndmask_b32_e64 v14, v14, 0, s[6:7]
	v_add_u32_e32 v3, v3, v14
	s_nop 1
	v_mov_b32_dpp v14, v3 row_bcast:31 row_mask:0xf bank_mask:0xf
	v_cndmask_b32_e64 v14, 0, v14, s[4:5]
	v_add_u32_e32 v3, v3, v14
	s_and_saveexec_b64 s[4:5], s[2:3]
	s_cbranch_execz .LBB3_157
; %bb.156:
	v_mov_b32_e32 v14, 0
	ds_write_b32 v14, v3 offset:1920
.LBB3_157:
	s_or_b64 exec, exec, s[4:5]
	ds_bpermute_b32 v3, v16, v3
	v_mov_b32_e32 v14, 0
	s_waitcnt lgkmcnt(0)
	; wave barrier
	s_waitcnt lgkmcnt(0)
	ds_read_b32 v14, v14 offset:1920
	v_cndmask_b32_e64 v3, v3, 0, s[0:1]
	s_waitcnt lgkmcnt(0)
	v_lshl_add_u32 v16, v14, 16, v3
	v_add_u32_e32 v17, v16, v4
	v_add_u32_e32 v4, v17, v5
	;; [unrolled: 1-line block ×7, first 2 shown]
	ds_write2_b64 v13, v[16:17], v[4:5] offset1:1
	ds_write2_b64 v13, v[6:7], v[0:1] offset0:2 offset1:3
	s_waitcnt lgkmcnt(0)
	; wave barrier
	s_waitcnt lgkmcnt(0)
	ds_read_u16 v0, v12
	v_mov_b32_e32 v1, 1
	v_lshlrev_b32_sdwa v1, v1, v9 dst_sel:DWORD dst_unused:UNUSED_PAD src0_sel:DWORD src1_sel:WORD_0
	s_waitcnt lgkmcnt(0)
	; wave barrier
	s_waitcnt lgkmcnt(0)
	v_lshl_add_u32 v0, v0, 1, v1
	ds_write_b16 v0, v8
	s_waitcnt lgkmcnt(0)
	; wave barrier
.LBB3_158:
	v_add_u32_e32 v0, v13, v15
	s_waitcnt lgkmcnt(0)
	ds_read_u16 v0, v0
	s_waitcnt lgkmcnt(0)
	v_xor_b32_e32 v0, -1, v0
	global_store_short v[10:11], v0, off
	s_endpgm
	.section	.rodata,"a",@progbits
	.p2align	6, 0x0
	.amdhsa_kernel _Z15sort_key_kernelILj60ELj1ELb0ELb1EtEvPT3_jj
		.amdhsa_group_segment_fixed_size 1936
		.amdhsa_private_segment_fixed_size 0
		.amdhsa_kernarg_size 16
		.amdhsa_user_sgpr_count 6
		.amdhsa_user_sgpr_private_segment_buffer 1
		.amdhsa_user_sgpr_dispatch_ptr 0
		.amdhsa_user_sgpr_queue_ptr 0
		.amdhsa_user_sgpr_kernarg_segment_ptr 1
		.amdhsa_user_sgpr_dispatch_id 0
		.amdhsa_user_sgpr_flat_scratch_init 0
		.amdhsa_user_sgpr_kernarg_preload_length 0
		.amdhsa_user_sgpr_kernarg_preload_offset 0
		.amdhsa_user_sgpr_private_segment_size 0
		.amdhsa_uses_dynamic_stack 0
		.amdhsa_system_sgpr_private_segment_wavefront_offset 0
		.amdhsa_system_sgpr_workgroup_id_x 1
		.amdhsa_system_sgpr_workgroup_id_y 0
		.amdhsa_system_sgpr_workgroup_id_z 0
		.amdhsa_system_sgpr_workgroup_info 0
		.amdhsa_system_vgpr_workitem_id 0
		.amdhsa_next_free_vgpr 28
		.amdhsa_next_free_sgpr 39
		.amdhsa_accum_offset 28
		.amdhsa_reserve_vcc 1
		.amdhsa_reserve_flat_scratch 0
		.amdhsa_float_round_mode_32 0
		.amdhsa_float_round_mode_16_64 0
		.amdhsa_float_denorm_mode_32 3
		.amdhsa_float_denorm_mode_16_64 3
		.amdhsa_dx10_clamp 1
		.amdhsa_ieee_mode 1
		.amdhsa_fp16_overflow 0
		.amdhsa_tg_split 0
		.amdhsa_exception_fp_ieee_invalid_op 0
		.amdhsa_exception_fp_denorm_src 0
		.amdhsa_exception_fp_ieee_div_zero 0
		.amdhsa_exception_fp_ieee_overflow 0
		.amdhsa_exception_fp_ieee_underflow 0
		.amdhsa_exception_fp_ieee_inexact 0
		.amdhsa_exception_int_div_zero 0
	.end_amdhsa_kernel
	.section	.text._Z15sort_key_kernelILj60ELj1ELb0ELb1EtEvPT3_jj,"axG",@progbits,_Z15sort_key_kernelILj60ELj1ELb0ELb1EtEvPT3_jj,comdat
.Lfunc_end3:
	.size	_Z15sort_key_kernelILj60ELj1ELb0ELb1EtEvPT3_jj, .Lfunc_end3-_Z15sort_key_kernelILj60ELj1ELb0ELb1EtEvPT3_jj
                                        ; -- End function
	.section	.AMDGPU.csdata,"",@progbits
; Kernel info:
; codeLenInByte = 5432
; NumSgprs: 43
; NumVgprs: 28
; NumAgprs: 0
; TotalNumVgprs: 28
; ScratchSize: 0
; MemoryBound: 0
; FloatMode: 240
; IeeeMode: 1
; LDSByteSize: 1936 bytes/workgroup (compile time only)
; SGPRBlocks: 5
; VGPRBlocks: 3
; NumSGPRsForWavesPerEU: 43
; NumVGPRsForWavesPerEU: 28
; AccumOffset: 28
; Occupancy: 8
; WaveLimiterHint : 0
; COMPUTE_PGM_RSRC2:SCRATCH_EN: 0
; COMPUTE_PGM_RSRC2:USER_SGPR: 6
; COMPUTE_PGM_RSRC2:TRAP_HANDLER: 0
; COMPUTE_PGM_RSRC2:TGID_X_EN: 1
; COMPUTE_PGM_RSRC2:TGID_Y_EN: 0
; COMPUTE_PGM_RSRC2:TGID_Z_EN: 0
; COMPUTE_PGM_RSRC2:TIDIG_COMP_CNT: 0
; COMPUTE_PGM_RSRC3_GFX90A:ACCUM_OFFSET: 6
; COMPUTE_PGM_RSRC3_GFX90A:TG_SPLIT: 0
	.section	.text._Z15sort_key_kernelILj512ELj2ELb1ELb0EhEvPT3_jj,"axG",@progbits,_Z15sort_key_kernelILj512ELj2ELb1ELb0EhEvPT3_jj,comdat
	.protected	_Z15sort_key_kernelILj512ELj2ELb1ELb0EhEvPT3_jj ; -- Begin function _Z15sort_key_kernelILj512ELj2ELb1ELb0EhEvPT3_jj
	.globl	_Z15sort_key_kernelILj512ELj2ELb1ELb0EhEvPT3_jj
	.p2align	8
	.type	_Z15sort_key_kernelILj512ELj2ELb1ELb0EhEvPT3_jj,@function
_Z15sort_key_kernelILj512ELj2ELb1ELb0EhEvPT3_jj: ; @_Z15sort_key_kernelILj512ELj2ELb1ELb0EhEvPT3_jj
; %bb.0:
	s_load_dwordx4 s[36:39], s[4:5], 0x0
	s_lshl_b32 s0, s6, 10
	v_and_b32_e32 v4, 0x3ff, v0
	v_lshlrev_b32_e32 v1, 1, v4
	v_mbcnt_lo_u32_b32 v3, -1, 0
	s_waitcnt lgkmcnt(0)
	s_add_u32 s36, s36, s0
	s_addc_u32 s37, s37, 0
	global_load_ushort v2, v1, s[36:37]
	v_mbcnt_hi_u32_b32 v12, -1, v3
	s_cmp_lg_u32 s38, 0
	v_bfe_u32 v17, v0, 10, 10
	v_bfe_u32 v18, v0, 20, 10
	v_lshrrev_b32_e32 v0, 1, v12
	s_cselect_b64 s[14:15], -1, 0
	s_cmp_lg_u32 s39, 8
	v_and_or_b32 v0, v12, 64, v0
	s_cselect_b64 s[16:17], -1, 0
	v_and_b32_e32 v3, 1, v12
	v_lshlrev_b32_e32 v21, 2, v0
	s_or_b64 s[14:15], s[14:15], s[16:17]
	s_mov_b32 s34, 0
	s_mov_b64 s[12:13], -1
	v_lshlrev_b32_e32 v5, 4, v4
	v_and_b32_e32 v15, 15, v12
	v_cmp_lt_u32_e64 s[2:3], 31, v12
	v_cmp_gt_u32_e64 s[6:7], 8, v4
	v_cmp_lt_u32_e64 s[8:9], 63, v4
	v_add_u32_e32 v13, -1, v12
	v_and_b32_e32 v14, 64, v12
	v_cmp_eq_u32_e64 s[10:11], 0, v12
	v_lshrrev_b32_e32 v16, 4, v4
	v_cmp_eq_u32_e64 s[0:1], 0, v3
	v_xor_b32_e32 v19, 0x80, v21
	s_and_b64 vcc, exec, s[14:15]
	s_waitcnt vmcnt(0)
	v_and_b32_e32 v22, 0xff, v2
	v_lshrrev_b16_e32 v20, 8, v2
	s_cbranch_vccz .LBB4_16
; %bb.1:
	ds_bpermute_b32 v0, v21, v22
	ds_bpermute_b32 v2, v21, v20
	;; [unrolled: 1-line block ×3, first 2 shown]
	s_waitcnt lgkmcnt(0)
	s_barrier
	v_and_b32_e32 v0, 0xff, v0
	v_and_b32_e32 v2, 0xff, v2
	v_lshlrev_b16_e32 v3, 8, v3
	v_cndmask_b32_e64 v0, v2, v0, s[0:1]
	v_or_b32_e32 v0, v0, v3
	ds_bpermute_b32 v3, v19, v20
	s_waitcnt lgkmcnt(0)
	s_load_dword s12, s[4:5], 0x1c
	v_cndmask_b32_e64 v2, v2, v0, s[0:1]
	v_cmp_lt_i32_e32 vcc, v13, v14
	v_lshlrev_b16_e32 v3, 8, v3
	v_or_b32_sdwa v2, v2, v3 dst_sel:DWORD dst_unused:UNUSED_PAD src0_sel:BYTE_0 src1_sel:DWORD
	v_cndmask_b32_e64 v0, v2, v0, s[0:1]
	s_waitcnt lgkmcnt(0)
	s_lshr_b32 s13, s12, 16
	v_and_b32_e32 v24, 0xffff, v0
	s_and_b32 s12, s12, 0xffff
	v_mad_u32_u24 v0, v18, s13, v17
	v_mad_u64_u32 v[2:3], s[12:13], v0, s12, v[4:5]
	v_and_b32_e32 v0, 16, v12
	v_cmp_eq_u32_e64 s[20:21], 0, v0
	v_and_b32_e32 v0, 0x3c0, v4
	v_min_u32_e32 v0, 0x1c0, v0
	v_or_b32_e32 v0, 63, v0
	v_cmp_eq_u32_e64 s[22:23], v0, v4
	v_cndmask_b32_e32 v0, v13, v12, vcc
	v_lshrrev_b32_e32 v23, 6, v2
	v_lshlrev_b32_e32 v25, 2, v0
	v_and_b32_e32 v26, 60, v16
	v_mul_i32_i24_e32 v0, -12, v4
	v_and_b32_e32 v2, 7, v12
	s_movk_i32 s33, 0x780
	s_mov_b32 s35, s34
	s_mov_b32 s40, s34
	;; [unrolled: 1-line block ×3, first 2 shown]
	v_cmp_eq_u32_e64 s[12:13], 0, v15
	v_cmp_lt_u32_e64 s[14:15], 1, v15
	v_cmp_lt_u32_e64 s[16:17], 3, v15
	;; [unrolled: 1-line block ×3, first 2 shown]
	v_cmp_eq_u32_e64 s[24:25], 0, v4
	v_cmp_eq_u32_e64 s[26:27], 0, v2
	v_cmp_lt_u32_e64 s[28:29], 1, v2
	v_cmp_lt_u32_e64 s[30:31], 3, v2
	v_add_u32_e32 v27, -4, v26
	v_and_or_b32 v28, v1, s33, v12
	s_sub_i32 s33, s39, s38
	v_pk_mov_b32 v[6:7], s[34:35], s[34:35] op_sel:[0,1]
	v_pk_mov_b32 v[8:9], s[40:41], s[40:41] op_sel:[0,1]
	v_add_u32_e32 v29, v5, v0
	v_mov_b32_e32 v10, 0
	s_branch .LBB4_3
.LBB4_2:                                ;   in Loop: Header=BB4_3 Depth=1
	v_add_u32_e32 v11, v1, v31
	s_barrier
	ds_write_b8 v11, v24
	v_add_u32_e32 v11, v2, v0
	ds_write_b8 v11, v32
	s_waitcnt lgkmcnt(0)
	s_barrier
	ds_read_u8 v11, v28 offset:64
	ds_read_u8 v24, v28
	s_add_i32 s33, s33, -8
	s_waitcnt lgkmcnt(0)
	v_lshlrev_b16_e32 v11, 8, v11
	v_or_b32_e32 v11, v24, v11
	v_and_b32_e32 v24, 0xffff, v11
	s_barrier
	s_cbranch_execz .LBB4_15
.LBB4_3:                                ; =>This Inner Loop Header: Depth=1
	s_min_u32 s34, s33, 8
	s_lshl_b32 s34, -1, s34
	s_not_b32 s40, s34
	v_lshrrev_b32_sdwa v0, s38, v24 dst_sel:DWORD dst_unused:UNUSED_PAD src0_sel:DWORD src1_sel:BYTE_0
	v_and_b32_e32 v0, s40, v0
	v_lshl_add_u32 v1, v0, 3, v23
	v_lshl_add_u32 v30, v1, 2, 32
	v_and_b32_e32 v1, 1, v0
	v_add_co_u32_e32 v2, vcc, -1, v1
	v_addc_co_u32_e64 v3, s[34:35], 0, -1, vcc
	v_cmp_ne_u32_e32 vcc, 0, v1
	v_lshlrev_b32_e32 v11, 30, v0
	v_xor_b32_e32 v1, vcc_hi, v3
	v_not_b32_e32 v3, v11
	v_xor_b32_e32 v2, vcc_lo, v2
	v_cmp_gt_i64_e32 vcc, 0, v[10:11]
	v_ashrrev_i32_e32 v3, 31, v3
	v_and_b32_e32 v1, exec_hi, v1
	v_xor_b32_e32 v11, vcc_hi, v3
	v_and_b32_e32 v2, exec_lo, v2
	v_xor_b32_e32 v3, vcc_lo, v3
	v_and_b32_e32 v1, v1, v11
	v_lshlrev_b32_e32 v11, 29, v0
	v_and_b32_e32 v2, v2, v3
	v_not_b32_e32 v3, v11
	v_cmp_gt_i64_e32 vcc, 0, v[10:11]
	v_ashrrev_i32_e32 v3, 31, v3
	v_xor_b32_e32 v11, vcc_hi, v3
	v_xor_b32_e32 v3, vcc_lo, v3
	v_and_b32_e32 v1, v1, v11
	v_lshlrev_b32_e32 v11, 28, v0
	v_and_b32_e32 v2, v2, v3
	v_not_b32_e32 v3, v11
	v_cmp_gt_i64_e32 vcc, 0, v[10:11]
	v_ashrrev_i32_e32 v3, 31, v3
	v_xor_b32_e32 v11, vcc_hi, v3
	;; [unrolled: 8-line block ×5, first 2 shown]
	v_and_b32_e32 v1, v1, v11
	v_lshlrev_b32_e32 v11, 24, v0
	v_not_b32_e32 v0, v11
	v_xor_b32_e32 v3, vcc_lo, v3
	v_cmp_gt_i64_e32 vcc, 0, v[10:11]
	v_ashrrev_i32_e32 v0, 31, v0
	v_and_b32_e32 v2, v2, v3
	v_xor_b32_e32 v3, vcc_hi, v0
	v_xor_b32_e32 v0, vcc_lo, v0
	v_and_b32_e32 v0, v2, v0
	v_and_b32_e32 v1, v1, v3
	v_mbcnt_lo_u32_b32 v2, v0, 0
	v_mbcnt_hi_u32_b32 v31, v1, v2
	v_cmp_eq_u32_e32 vcc, 0, v31
	v_cmp_ne_u64_e64 s[34:35], 0, v[0:1]
	s_and_b64 s[42:43], s[34:35], vcc
	ds_write2_b64 v5, v[6:7], v[8:9] offset0:4 offset1:5
	s_waitcnt lgkmcnt(0)
	s_barrier
	s_waitcnt lgkmcnt(0)
	; wave barrier
	s_and_saveexec_b64 s[34:35], s[42:43]
	s_cbranch_execz .LBB4_5
; %bb.4:                                ;   in Loop: Header=BB4_3 Depth=1
	v_bcnt_u32_b32 v0, v0, 0
	v_bcnt_u32_b32 v0, v1, v0
	ds_write_b32 v30, v0
.LBB4_5:                                ;   in Loop: Header=BB4_3 Depth=1
	s_or_b64 exec, exec, s[34:35]
	v_lshrrev_b16_e32 v32, 8, v24
	v_lshrrev_b32_e32 v0, s38, v32
	v_and_b32_e32 v0, s40, v0
	v_lshlrev_b32_e32 v1, 3, v0
	v_add_lshl_u32 v1, v1, v23, 2
	; wave barrier
	v_add_u32_e32 v34, 32, v1
	ds_read_b32 v33, v1 offset:32
	v_and_b32_e32 v1, 1, v0
	v_add_co_u32_e32 v2, vcc, -1, v1
	v_addc_co_u32_e64 v3, s[34:35], 0, -1, vcc
	v_cmp_ne_u32_e32 vcc, 0, v1
	v_lshlrev_b32_e32 v11, 30, v0
	v_xor_b32_e32 v1, vcc_hi, v3
	v_not_b32_e32 v3, v11
	v_xor_b32_e32 v2, vcc_lo, v2
	v_cmp_gt_i64_e32 vcc, 0, v[10:11]
	v_ashrrev_i32_e32 v3, 31, v3
	v_and_b32_e32 v1, exec_hi, v1
	v_xor_b32_e32 v11, vcc_hi, v3
	v_and_b32_e32 v2, exec_lo, v2
	v_xor_b32_e32 v3, vcc_lo, v3
	v_and_b32_e32 v1, v1, v11
	v_lshlrev_b32_e32 v11, 29, v0
	v_and_b32_e32 v2, v2, v3
	v_not_b32_e32 v3, v11
	v_cmp_gt_i64_e32 vcc, 0, v[10:11]
	v_ashrrev_i32_e32 v3, 31, v3
	v_xor_b32_e32 v11, vcc_hi, v3
	v_xor_b32_e32 v3, vcc_lo, v3
	v_and_b32_e32 v1, v1, v11
	v_lshlrev_b32_e32 v11, 28, v0
	v_and_b32_e32 v2, v2, v3
	v_not_b32_e32 v3, v11
	v_cmp_gt_i64_e32 vcc, 0, v[10:11]
	v_ashrrev_i32_e32 v3, 31, v3
	v_xor_b32_e32 v11, vcc_hi, v3
	;; [unrolled: 8-line block ×5, first 2 shown]
	v_and_b32_e32 v1, v1, v11
	v_lshlrev_b32_e32 v11, 24, v0
	v_not_b32_e32 v0, v11
	v_xor_b32_e32 v3, vcc_lo, v3
	v_cmp_gt_i64_e32 vcc, 0, v[10:11]
	v_ashrrev_i32_e32 v0, 31, v0
	v_and_b32_e32 v2, v2, v3
	v_xor_b32_e32 v3, vcc_hi, v0
	v_xor_b32_e32 v0, vcc_lo, v0
	v_and_b32_e32 v0, v2, v0
	v_and_b32_e32 v1, v1, v3
	v_mbcnt_lo_u32_b32 v2, v0, 0
	v_mbcnt_hi_u32_b32 v11, v1, v2
	v_cmp_eq_u32_e32 vcc, 0, v11
	v_cmp_ne_u64_e64 s[34:35], 0, v[0:1]
	s_and_b64 s[40:41], s[34:35], vcc
	; wave barrier
	s_and_saveexec_b64 s[34:35], s[40:41]
	s_cbranch_execz .LBB4_7
; %bb.6:                                ;   in Loop: Header=BB4_3 Depth=1
	v_bcnt_u32_b32 v0, v0, 0
	v_bcnt_u32_b32 v0, v1, v0
	s_waitcnt lgkmcnt(0)
	v_add_u32_e32 v0, v33, v0
	ds_write_b32 v34, v0
.LBB4_7:                                ;   in Loop: Header=BB4_3 Depth=1
	s_or_b64 exec, exec, s[34:35]
	; wave barrier
	s_waitcnt lgkmcnt(0)
	s_barrier
	ds_read2_b64 v[0:3], v5 offset0:4 offset1:5
	s_waitcnt lgkmcnt(0)
	v_add_u32_e32 v35, v1, v0
	v_add3_u32 v3, v35, v2, v3
	s_nop 1
	v_mov_b32_dpp v35, v3 row_shr:1 row_mask:0xf bank_mask:0xf
	v_cndmask_b32_e64 v35, v35, 0, s[12:13]
	v_add_u32_e32 v3, v35, v3
	s_nop 1
	v_mov_b32_dpp v35, v3 row_shr:2 row_mask:0xf bank_mask:0xf
	v_cndmask_b32_e64 v35, 0, v35, s[14:15]
	v_add_u32_e32 v3, v3, v35
	;; [unrolled: 4-line block ×4, first 2 shown]
	s_nop 1
	v_mov_b32_dpp v35, v3 row_bcast:15 row_mask:0xf bank_mask:0xf
	v_cndmask_b32_e64 v35, v35, 0, s[20:21]
	v_add_u32_e32 v3, v3, v35
	s_nop 1
	v_mov_b32_dpp v35, v3 row_bcast:31 row_mask:0xf bank_mask:0xf
	v_cndmask_b32_e64 v35, 0, v35, s[2:3]
	v_add_u32_e32 v3, v3, v35
	s_and_saveexec_b64 s[34:35], s[22:23]
	s_cbranch_execz .LBB4_9
; %bb.8:                                ;   in Loop: Header=BB4_3 Depth=1
	ds_write_b32 v26, v3
.LBB4_9:                                ;   in Loop: Header=BB4_3 Depth=1
	s_or_b64 exec, exec, s[34:35]
	s_waitcnt lgkmcnt(0)
	s_barrier
	s_and_saveexec_b64 s[34:35], s[6:7]
	s_cbranch_execz .LBB4_11
; %bb.10:                               ;   in Loop: Header=BB4_3 Depth=1
	ds_read_b32 v35, v29
	s_waitcnt lgkmcnt(0)
	s_nop 0
	v_mov_b32_dpp v36, v35 row_shr:1 row_mask:0xf bank_mask:0xf
	v_cndmask_b32_e64 v36, v36, 0, s[26:27]
	v_add_u32_e32 v35, v36, v35
	s_nop 1
	v_mov_b32_dpp v36, v35 row_shr:2 row_mask:0xf bank_mask:0xf
	v_cndmask_b32_e64 v36, 0, v36, s[28:29]
	v_add_u32_e32 v35, v35, v36
	;; [unrolled: 4-line block ×3, first 2 shown]
	ds_write_b32 v29, v35
.LBB4_11:                               ;   in Loop: Header=BB4_3 Depth=1
	s_or_b64 exec, exec, s[34:35]
	v_mov_b32_e32 v35, 0
	s_waitcnt lgkmcnt(0)
	s_barrier
	s_and_saveexec_b64 s[34:35], s[8:9]
	s_cbranch_execz .LBB4_13
; %bb.12:                               ;   in Loop: Header=BB4_3 Depth=1
	ds_read_b32 v35, v27
.LBB4_13:                               ;   in Loop: Header=BB4_3 Depth=1
	s_or_b64 exec, exec, s[34:35]
	s_waitcnt lgkmcnt(0)
	v_add_u32_e32 v3, v35, v3
	ds_bpermute_b32 v36, v25, v3
	s_add_i32 s38, s38, 8
	v_mov_b32_e32 v3, v24
	s_cmp_ge_u32 s38, s39
	s_waitcnt lgkmcnt(0)
	v_cndmask_b32_e64 v35, v36, v35, s[10:11]
	v_cndmask_b32_e64 v36, v35, 0, s[24:25]
	v_add_u32_e32 v37, v36, v0
	v_add_u32_e32 v0, v37, v1
	;; [unrolled: 1-line block ×3, first 2 shown]
	ds_write2_b64 v5, v[36:37], v[0:1] offset0:4 offset1:5
	s_waitcnt lgkmcnt(0)
	s_barrier
	ds_read_b32 v1, v30
	ds_read_b32 v0, v34
	v_add_u32_e32 v2, v11, v33
	s_waitcnt lgkmcnt(0)
	s_cbranch_scc0 .LBB4_2
; %bb.14:
                                        ; implicit-def: $vgpr24
                                        ; implicit-def: $sgpr33
.LBB4_15:
	v_add_u32_e32 v1, v1, v31
	v_add_u32_e32 v0, v2, v0
	s_mov_b64 s[12:13], 0
	s_barrier
	ds_write_b8 v1, v3
	ds_write_b8 v0, v32
	s_waitcnt lgkmcnt(0)
	s_barrier
.LBB4_16:
	s_and_b64 vcc, exec, s[12:13]
	s_cbranch_vccz .LBB4_28
; %bb.17:
	ds_bpermute_b32 v0, v21, v22
	ds_bpermute_b32 v1, v21, v20
	;; [unrolled: 1-line block ×3, first 2 shown]
	s_waitcnt lgkmcnt(0)
	s_barrier
	v_and_b32_e32 v0, 0xff, v0
	v_and_b32_e32 v1, 0xff, v1
	v_lshlrev_b16_e32 v2, 8, v2
	v_cndmask_b32_e64 v0, v1, v0, s[0:1]
	v_or_b32_e32 v0, v0, v2
	ds_bpermute_b32 v2, v19, v20
	s_waitcnt lgkmcnt(0)
	s_load_dword s2, s[4:5], 0x1c
	v_cndmask_b32_e64 v1, v1, v0, s[0:1]
	v_and_b32_e32 v9, 0x3c0, v4
	v_lshlrev_b16_e32 v2, 8, v2
	v_or_b32_sdwa v1, v1, v2 dst_sel:DWORD dst_unused:UNUSED_PAD src0_sel:BYTE_0 src1_sel:DWORD
	v_cndmask_b32_e64 v6, v1, v0, s[0:1]
	s_waitcnt lgkmcnt(0)
	s_lshr_b32 s0, s2, 16
	s_and_b32 s1, s2, 0xffff
	v_mad_u32_u24 v0, v18, s0, v17
	v_mad_u64_u32 v[0:1], s[0:1], v0, s1, v[4:5]
	s_mov_b32 s0, 0
	s_mov_b32 s1, s0
	;; [unrolled: 1-line block ×4, first 2 shown]
	v_lshrrev_b32_e32 v10, 6, v0
	v_pk_mov_b32 v[0:1], s[0:1], s[0:1] op_sel:[0,1]
	v_pk_mov_b32 v[2:3], s[2:3], s[2:3] op_sel:[0,1]
	ds_write2_b64 v5, v[0:1], v[2:3] offset0:4 offset1:5
	v_and_b32_e32 v1, 1, v6
	v_add_co_u32_e32 v2, vcc, -1, v1
	v_mov_b32_e32 v0, 3
	v_addc_co_u32_e64 v3, s[0:1], 0, -1, vcc
	v_cmp_ne_u32_e32 vcc, 0, v1
	v_lshlrev_b32_sdwa v0, v0, v6 dst_sel:DWORD dst_unused:UNUSED_PAD src0_sel:DWORD src1_sel:BYTE_0
	v_xor_b32_e32 v1, vcc_hi, v3
	v_add_lshl_u32 v7, v10, v0, 2
	v_mov_b32_e32 v0, 0
	v_and_b32_e32 v3, exec_hi, v1
	v_lshlrev_b32_e32 v1, 30, v6
	v_xor_b32_e32 v2, vcc_lo, v2
	v_cmp_gt_i64_e32 vcc, 0, v[0:1]
	v_not_b32_e32 v1, v1
	v_ashrrev_i32_e32 v1, 31, v1
	v_and_b32_e32 v2, exec_lo, v2
	v_xor_b32_e32 v8, vcc_hi, v1
	v_xor_b32_e32 v1, vcc_lo, v1
	v_and_b32_e32 v2, v2, v1
	v_lshlrev_b32_e32 v1, 29, v6
	v_cmp_gt_i64_e32 vcc, 0, v[0:1]
	v_not_b32_e32 v1, v1
	v_ashrrev_i32_e32 v1, 31, v1
	v_and_b32_e32 v3, v3, v8
	v_xor_b32_e32 v8, vcc_hi, v1
	v_xor_b32_e32 v1, vcc_lo, v1
	v_and_b32_e32 v2, v2, v1
	v_lshlrev_b32_e32 v1, 28, v6
	v_cmp_gt_i64_e32 vcc, 0, v[0:1]
	v_not_b32_e32 v1, v1
	v_ashrrev_i32_e32 v1, 31, v1
	v_and_b32_e32 v3, v3, v8
	;; [unrolled: 8-line block ×6, first 2 shown]
	v_xor_b32_e32 v8, vcc_hi, v1
	v_xor_b32_e32 v1, vcc_lo, v1
	v_and_b32_e32 v2, v2, v1
	v_and_b32_e32 v3, v3, v8
	v_mbcnt_lo_u32_b32 v1, v2, 0
	v_mbcnt_hi_u32_b32 v8, v3, v1
	v_cmp_eq_u32_e32 vcc, 0, v8
	v_cmp_ne_u64_e64 s[0:1], 0, v[2:3]
	s_and_b64 s[2:3], s[0:1], vcc
	s_waitcnt lgkmcnt(0)
	s_barrier
	s_waitcnt lgkmcnt(0)
	; wave barrier
	s_and_saveexec_b64 s[0:1], s[2:3]
	s_cbranch_execz .LBB4_19
; %bb.18:
	v_bcnt_u32_b32 v1, v2, 0
	v_bcnt_u32_b32 v1, v3, v1
	ds_write_b32 v7, v1 offset:32
.LBB4_19:
	s_or_b64 exec, exec, s[0:1]
	v_mov_b32_e32 v1, 8
	v_min_u32_e32 v18, 0x1c0, v9
	v_lshrrev_b16_sdwa v9, v1, v6 dst_sel:DWORD dst_unused:UNUSED_PAD src0_sel:DWORD src1_sel:WORD_0
	v_lshlrev_b32_e32 v1, 3, v9
	v_add_lshl_u32 v11, v10, v1, 2
	v_and_b32_e32 v1, 1, v9
	v_add_co_u32_e32 v2, vcc, -1, v1
	v_addc_co_u32_e64 v3, s[0:1], 0, -1, vcc
	v_cmp_ne_u32_e32 vcc, 0, v1
	v_xor_b32_e32 v1, vcc_hi, v3
	v_and_b32_e32 v3, exec_hi, v1
	v_lshlrev_b32_e32 v1, 30, v9
	v_xor_b32_e32 v2, vcc_lo, v2
	v_cmp_gt_i64_e32 vcc, 0, v[0:1]
	v_not_b32_e32 v1, v1
	v_ashrrev_i32_e32 v1, 31, v1
	v_and_b32_e32 v2, exec_lo, v2
	v_xor_b32_e32 v17, vcc_hi, v1
	v_xor_b32_e32 v1, vcc_lo, v1
	v_and_b32_e32 v2, v2, v1
	v_lshlrev_b32_e32 v1, 29, v9
	v_cmp_gt_i64_e32 vcc, 0, v[0:1]
	v_not_b32_e32 v1, v1
	v_ashrrev_i32_e32 v1, 31, v1
	v_and_b32_e32 v3, v3, v17
	v_xor_b32_e32 v17, vcc_hi, v1
	v_xor_b32_e32 v1, vcc_lo, v1
	v_and_b32_e32 v2, v2, v1
	v_lshlrev_b32_e32 v1, 28, v9
	v_cmp_gt_i64_e32 vcc, 0, v[0:1]
	v_not_b32_e32 v1, v1
	v_ashrrev_i32_e32 v1, 31, v1
	v_and_b32_e32 v3, v3, v17
	;; [unrolled: 8-line block ×5, first 2 shown]
	v_xor_b32_e32 v17, vcc_hi, v1
	v_xor_b32_e32 v1, vcc_lo, v1
	v_and_b32_e32 v2, v2, v1
	v_lshlrev_b32_e32 v1, 24, v9
	v_cmp_gt_i64_e32 vcc, 0, v[0:1]
	v_not_b32_e32 v0, v1
	v_ashrrev_i32_e32 v0, 31, v0
	v_xor_b32_e32 v1, vcc_hi, v0
	v_xor_b32_e32 v0, vcc_lo, v0
	; wave barrier
	ds_read_b32 v10, v11 offset:32
	v_and_b32_e32 v3, v3, v17
	v_and_b32_e32 v0, v2, v0
	v_and_b32_e32 v1, v3, v1
	v_mbcnt_lo_u32_b32 v2, v0, 0
	v_mbcnt_hi_u32_b32 v17, v1, v2
	v_cmp_eq_u32_e32 vcc, 0, v17
	v_cmp_ne_u64_e64 s[0:1], 0, v[0:1]
	s_and_b64 s[2:3], s[0:1], vcc
	; wave barrier
	s_and_saveexec_b64 s[0:1], s[2:3]
	s_cbranch_execz .LBB4_21
; %bb.20:
	v_bcnt_u32_b32 v0, v0, 0
	v_bcnt_u32_b32 v0, v1, v0
	s_waitcnt lgkmcnt(0)
	v_add_u32_e32 v0, v10, v0
	ds_write_b32 v11, v0 offset:32
.LBB4_21:
	s_or_b64 exec, exec, s[0:1]
	; wave barrier
	s_waitcnt lgkmcnt(0)
	s_barrier
	ds_read2_b64 v[0:3], v5 offset0:4 offset1:5
	v_or_b32_e32 v18, 63, v18
	v_cmp_eq_u32_e32 vcc, v18, v4
	v_cmp_ne_u32_e64 s[0:1], 0, v15
	v_bfe_i32 v19, v12, 4, 1
	s_waitcnt lgkmcnt(0)
	v_add_u32_e32 v18, v1, v0
	v_add3_u32 v3, v18, v2, v3
	v_and_b32_e32 v16, 60, v16
	s_nop 0
	v_mov_b32_dpp v18, v3 row_shr:1 row_mask:0xf bank_mask:0xf
	v_cndmask_b32_e64 v18, 0, v18, s[0:1]
	v_add_u32_e32 v3, v18, v3
	v_cmp_lt_u32_e64 s[0:1], 1, v15
	s_nop 0
	v_mov_b32_dpp v18, v3 row_shr:2 row_mask:0xf bank_mask:0xf
	v_cndmask_b32_e64 v18, 0, v18, s[0:1]
	v_add_u32_e32 v3, v3, v18
	v_cmp_lt_u32_e64 s[0:1], 3, v15
	;; [unrolled: 5-line block ×4, first 2 shown]
	s_nop 0
	v_mov_b32_dpp v15, v3 row_bcast:15 row_mask:0xf bank_mask:0xf
	v_and_b32_e32 v15, v19, v15
	v_add_u32_e32 v3, v3, v15
	s_nop 1
	v_mov_b32_dpp v15, v3 row_bcast:31 row_mask:0xf bank_mask:0xf
	v_cndmask_b32_e64 v15, 0, v15, s[0:1]
	v_add_u32_e32 v3, v3, v15
	s_and_saveexec_b64 s[0:1], vcc
	s_cbranch_execz .LBB4_23
; %bb.22:
	ds_write_b32 v16, v3
.LBB4_23:
	s_or_b64 exec, exec, s[0:1]
	v_cmp_gt_u32_e32 vcc, 8, v4
	s_waitcnt lgkmcnt(0)
	s_barrier
	s_and_saveexec_b64 s[0:1], vcc
	s_cbranch_execz .LBB4_25
; %bb.24:
	v_mul_i32_i24_e32 v15, -12, v4
	v_add_u32_e32 v15, v5, v15
	ds_read_b32 v18, v15
	v_and_b32_e32 v19, 7, v12
	v_cmp_ne_u32_e32 vcc, 0, v19
	s_waitcnt lgkmcnt(0)
	v_mov_b32_dpp v20, v18 row_shr:1 row_mask:0xf bank_mask:0xf
	v_cndmask_b32_e32 v20, 0, v20, vcc
	v_add_u32_e32 v18, v20, v18
	v_cmp_lt_u32_e32 vcc, 1, v19
	s_nop 0
	v_mov_b32_dpp v20, v18 row_shr:2 row_mask:0xf bank_mask:0xf
	v_cndmask_b32_e32 v20, 0, v20, vcc
	v_add_u32_e32 v18, v18, v20
	v_cmp_lt_u32_e32 vcc, 3, v19
	s_nop 0
	v_mov_b32_dpp v20, v18 row_shr:4 row_mask:0xf bank_mask:0xf
	v_cndmask_b32_e32 v19, 0, v20, vcc
	v_add_u32_e32 v18, v18, v19
	ds_write_b32 v15, v18
.LBB4_25:
	s_or_b64 exec, exec, s[0:1]
	v_cmp_lt_u32_e32 vcc, 63, v4
	v_mov_b32_e32 v15, 0
	s_waitcnt lgkmcnt(0)
	s_barrier
	s_and_saveexec_b64 s[0:1], vcc
	s_cbranch_execz .LBB4_27
; %bb.26:
	v_add_u32_e32 v15, -4, v16
	ds_read_b32 v15, v15
.LBB4_27:
	s_or_b64 exec, exec, s[0:1]
	v_cmp_lt_i32_e32 vcc, v13, v14
	v_cndmask_b32_e32 v13, v13, v12, vcc
	v_lshlrev_b32_e32 v13, 2, v13
	s_waitcnt lgkmcnt(0)
	v_add_u32_e32 v3, v15, v3
	ds_bpermute_b32 v3, v13, v3
	v_cmp_eq_u32_e32 vcc, 0, v12
	s_waitcnt lgkmcnt(0)
	v_cndmask_b32_e32 v3, v3, v15, vcc
	v_cmp_ne_u32_e32 vcc, 0, v4
	v_cndmask_b32_e32 v12, 0, v3, vcc
	v_add_u32_e32 v13, v12, v0
	v_add_u32_e32 v0, v13, v1
	;; [unrolled: 1-line block ×3, first 2 shown]
	ds_write2_b64 v5, v[12:13], v[0:1] offset0:4 offset1:5
	s_waitcnt lgkmcnt(0)
	s_barrier
	ds_read_b32 v0, v7 offset:32
	ds_read_b32 v1, v11 offset:32
	s_waitcnt lgkmcnt(0)
	s_barrier
	v_add_u32_e32 v0, v0, v8
	ds_write_b8 v0, v6
	v_add3_u32 v0, v17, v10, v1
	ds_write_b8 v0, v9
	s_waitcnt lgkmcnt(0)
	s_barrier
.LBB4_28:
	ds_read_u8 v0, v4
	ds_read_u8 v1, v4 offset:512
	s_waitcnt lgkmcnt(1)
	global_store_byte v4, v0, s[36:37]
	s_waitcnt lgkmcnt(0)
	global_store_byte v4, v1, s[36:37] offset:512
	s_endpgm
	.section	.rodata,"a",@progbits
	.p2align	6, 0x0
	.amdhsa_kernel _Z15sort_key_kernelILj512ELj2ELb1ELb0EhEvPT3_jj
		.amdhsa_group_segment_fixed_size 8224
		.amdhsa_private_segment_fixed_size 0
		.amdhsa_kernarg_size 272
		.amdhsa_user_sgpr_count 6
		.amdhsa_user_sgpr_private_segment_buffer 1
		.amdhsa_user_sgpr_dispatch_ptr 0
		.amdhsa_user_sgpr_queue_ptr 0
		.amdhsa_user_sgpr_kernarg_segment_ptr 1
		.amdhsa_user_sgpr_dispatch_id 0
		.amdhsa_user_sgpr_flat_scratch_init 0
		.amdhsa_user_sgpr_kernarg_preload_length 0
		.amdhsa_user_sgpr_kernarg_preload_offset 0
		.amdhsa_user_sgpr_private_segment_size 0
		.amdhsa_uses_dynamic_stack 0
		.amdhsa_system_sgpr_private_segment_wavefront_offset 0
		.amdhsa_system_sgpr_workgroup_id_x 1
		.amdhsa_system_sgpr_workgroup_id_y 0
		.amdhsa_system_sgpr_workgroup_id_z 0
		.amdhsa_system_sgpr_workgroup_info 0
		.amdhsa_system_vgpr_workitem_id 2
		.amdhsa_next_free_vgpr 38
		.amdhsa_next_free_sgpr 44
		.amdhsa_accum_offset 40
		.amdhsa_reserve_vcc 1
		.amdhsa_reserve_flat_scratch 0
		.amdhsa_float_round_mode_32 0
		.amdhsa_float_round_mode_16_64 0
		.amdhsa_float_denorm_mode_32 3
		.amdhsa_float_denorm_mode_16_64 3
		.amdhsa_dx10_clamp 1
		.amdhsa_ieee_mode 1
		.amdhsa_fp16_overflow 0
		.amdhsa_tg_split 0
		.amdhsa_exception_fp_ieee_invalid_op 0
		.amdhsa_exception_fp_denorm_src 0
		.amdhsa_exception_fp_ieee_div_zero 0
		.amdhsa_exception_fp_ieee_overflow 0
		.amdhsa_exception_fp_ieee_underflow 0
		.amdhsa_exception_fp_ieee_inexact 0
		.amdhsa_exception_int_div_zero 0
	.end_amdhsa_kernel
	.section	.text._Z15sort_key_kernelILj512ELj2ELb1ELb0EhEvPT3_jj,"axG",@progbits,_Z15sort_key_kernelILj512ELj2ELb1ELb0EhEvPT3_jj,comdat
.Lfunc_end4:
	.size	_Z15sort_key_kernelILj512ELj2ELb1ELb0EhEvPT3_jj, .Lfunc_end4-_Z15sort_key_kernelILj512ELj2ELb1ELb0EhEvPT3_jj
                                        ; -- End function
	.section	.AMDGPU.csdata,"",@progbits
; Kernel info:
; codeLenInByte = 3428
; NumSgprs: 48
; NumVgprs: 38
; NumAgprs: 0
; TotalNumVgprs: 38
; ScratchSize: 0
; MemoryBound: 0
; FloatMode: 240
; IeeeMode: 1
; LDSByteSize: 8224 bytes/workgroup (compile time only)
; SGPRBlocks: 5
; VGPRBlocks: 4
; NumSGPRsForWavesPerEU: 48
; NumVGPRsForWavesPerEU: 38
; AccumOffset: 40
; Occupancy: 8
; WaveLimiterHint : 1
; COMPUTE_PGM_RSRC2:SCRATCH_EN: 0
; COMPUTE_PGM_RSRC2:USER_SGPR: 6
; COMPUTE_PGM_RSRC2:TRAP_HANDLER: 0
; COMPUTE_PGM_RSRC2:TGID_X_EN: 1
; COMPUTE_PGM_RSRC2:TGID_Y_EN: 0
; COMPUTE_PGM_RSRC2:TGID_Z_EN: 0
; COMPUTE_PGM_RSRC2:TIDIG_COMP_CNT: 2
; COMPUTE_PGM_RSRC3_GFX90A:ACCUM_OFFSET: 9
; COMPUTE_PGM_RSRC3_GFX90A:TG_SPLIT: 0
	.section	.text._Z15sort_key_kernelILj162ELj2ELb1ELb1EjEvPT3_jj,"axG",@progbits,_Z15sort_key_kernelILj162ELj2ELb1ELb1EjEvPT3_jj,comdat
	.protected	_Z15sort_key_kernelILj162ELj2ELb1ELb1EjEvPT3_jj ; -- Begin function _Z15sort_key_kernelILj162ELj2ELb1ELb1EjEvPT3_jj
	.globl	_Z15sort_key_kernelILj162ELj2ELb1ELb1EjEvPT3_jj
	.p2align	8
	.type	_Z15sort_key_kernelILj162ELj2ELb1ELb1EjEvPT3_jj,@function
_Z15sort_key_kernelILj162ELj2ELb1ELb1EjEvPT3_jj: ; @_Z15sort_key_kernelILj162ELj2ELb1ELb1EjEvPT3_jj
; %bb.0:
	s_load_dwordx4 s[24:27], s[4:5], 0x0
	s_mul_i32 s0, s6, 0x144
	s_mov_b32 s1, 0
	s_lshl_b64 s[0:1], s[0:1], 2
	v_lshlrev_b32_e32 v1, 3, v0
	s_waitcnt lgkmcnt(0)
	s_add_u32 s28, s24, s0
	s_addc_u32 s29, s25, s1
	global_load_dwordx2 v[2:3], v1, s[28:29]
	v_mbcnt_lo_u32_b32 v1, -1, 0
	v_mbcnt_hi_u32_b32 v1, -1, v1
	s_cmp_eq_u32 s26, 0
	v_and_b32_e32 v4, 0xc0, v0
	v_add_u32_e32 v9, -1, v1
	v_and_b32_e32 v10, 64, v1
	s_cselect_b64 s[30:31], -1, 0
	s_cmp_eq_u32 s27, 32
	s_mov_b32 s9, 0x1948b10
	v_lshrrev_b32_e32 v5, 4, v0
	v_sub_u32_e32 v6, 0x46d, v0
	v_min_u32_e32 v4, 0x62, v4
	v_cmp_lt_i32_e32 vcc, v9, v10
	s_cselect_b64 s[34:35], -1, 0
	s_movk_i32 s8, 0xffe4
	v_lshlrev_b32_e32 v16, 5, v0
	v_and_b32_e32 v7, 15, v1
	v_and_b32_e32 v8, 16, v1
	v_cmp_lt_u32_e64 s[4:5], 31, v1
	v_cmp_eq_u32_e64 s[6:7], 0, v1
	v_and_b32_e32 v17, 12, v5
	v_and_b32_e32 v5, 3, v1
	v_mul_hi_u32 v6, v6, s9
	v_add_u32_e32 v4, 63, v4
	v_cndmask_b32_e32 v1, v9, v1, vcc
	s_and_b64 s[30:31], s[30:31], s[34:35]
	s_mov_b64 s[24:25], -1
	v_cmp_gt_u32_e64 s[0:1], 3, v0
	v_cmp_lt_u32_e64 s[2:3], 63, v0
	v_lshlrev_b32_e32 v11, 2, v0
	v_mad_i32_i24 v18, v0, s8, v16
	v_cmp_eq_u32_e64 s[8:9], 0, v7
	v_cmp_lt_u32_e64 s[10:11], 1, v7
	v_cmp_lt_u32_e64 s[12:13], 3, v7
	;; [unrolled: 1-line block ×3, first 2 shown]
	v_cmp_eq_u32_e64 s[16:17], 0, v8
	v_cmp_eq_u32_e64 s[18:19], 0, v5
	v_cmp_lt_u32_e64 s[20:21], 1, v5
	v_add_u32_e32 v20, 3, v6
	v_add_u32_e32 v10, 1, v6
	v_cmp_eq_u32_e64 s[22:23], v4, v0
	v_lshlrev_b32_e32 v19, 2, v1
	s_and_b64 vcc, exec, s[30:31]
	s_waitcnt vmcnt(0)
	v_not_b32_e32 v13, v3
	v_not_b32_e32 v12, v2
	s_cbranch_vccnz .LBB5_18
; %bb.1:
	v_and_b32_e32 v21, 30, v20
	v_mov_b32_e32 v1, v10
	v_mov_b32_e32 v22, 0
	;; [unrolled: 1-line block ×3, first 2 shown]
	v_pk_mov_b32 v[2:3], v[12:13], v[12:13] op_sel:[0,1]
	s_branch .LBB5_3
.LBB5_2:                                ;   in Loop: Header=BB5_3 Depth=1
	v_add_u32_e32 v2, v18, v11
	s_barrier
	ds_write_b32 v4, v14
	ds_write_b32 v5, v15
	s_waitcnt lgkmcnt(0)
	s_barrier
	ds_read_b64 v[2:3], v2
	s_waitcnt lgkmcnt(0)
	s_barrier
	s_cbranch_execz .LBB5_17
.LBB5_3:                                ; =>This Loop Header: Depth=1
                                        ;     Child Loop BB5_5 Depth 2
	v_pk_mov_b32 v[14:15], v[2:3], v[2:3] op_sel:[0,1]
	s_mov_b64 s[30:31], 0
	v_mov_b32_e32 v2, v18
	s_mov_b32 s33, 0
	s_branch .LBB5_5
.LBB5_4:                                ;   in Loop: Header=BB5_5 Depth=2
	s_or_b64 exec, exec, s[24:25]
	s_add_i32 s33, s33, 2
	v_cmp_eq_u32_e32 vcc, s33, v21
	s_or_b64 s[30:31], vcc, s[30:31]
	v_add_u32_e32 v2, 0x510, v2
	s_andn2_b64 exec, exec, s[30:31]
	s_cbranch_execz .LBB5_9
.LBB5_5:                                ;   Parent Loop BB5_3 Depth=1
                                        ; =>  This Inner Loop Header: Depth=2
	s_or_b32 s24, s33, 1
	v_cmp_le_u32_e32 vcc, s24, v1
	v_cmp_le_u32_e64 s[24:25], s33, v10
	s_and_saveexec_b64 s[34:35], s[24:25]
	s_cbranch_execz .LBB5_7
; %bb.6:                                ;   in Loop: Header=BB5_5 Depth=2
	ds_write_b32 v2, v22
.LBB5_7:                                ;   in Loop: Header=BB5_5 Depth=2
	s_or_b64 exec, exec, s[34:35]
	s_and_saveexec_b64 s[24:25], vcc
	s_cbranch_execz .LBB5_4
; %bb.8:                                ;   in Loop: Header=BB5_5 Depth=2
	ds_write_b32 v2, v22 offset:648
	s_branch .LBB5_4
.LBB5_9:                                ;   in Loop: Header=BB5_3 Depth=1
	s_or_b64 exec, exec, s[30:31]
	s_sub_i32 s24, s27, s26
	s_min_u32 s24, s24, 4
	s_lshl_b32 s24, -1, s24
	s_not_b32 s24, s24
	v_lshrrev_b32_e32 v2, s26, v14
	v_and_b32_e32 v2, s24, v2
	v_and_b32_e32 v3, 7, v2
	v_mul_u32_u24_e32 v3, 0xa2, v3
	v_lshrrev_b32_e32 v2, 3, v2
	v_add_lshl_u32 v3, v3, v0, 1
	v_add_lshl_u32 v25, v3, v2, 1
	ds_read_u16 v24, v25
	v_lshrrev_b32_e32 v2, s26, v15
	v_and_b32_e32 v2, s24, v2
	s_waitcnt lgkmcnt(0)
	v_add_u16_e32 v3, 1, v24
	ds_write_b16 v25, v3
	v_and_b32_e32 v3, 7, v2
	v_mul_u32_u24_e32 v3, 0xa2, v3
	v_lshrrev_b32_e32 v2, 3, v2
	v_add_lshl_u32 v3, v3, v0, 1
	v_add_lshl_u32 v27, v3, v2, 1
	ds_read_u16 v26, v27
	s_waitcnt lgkmcnt(0)
	v_add_u16_e32 v2, 1, v26
	ds_write_b16 v27, v2
	s_waitcnt lgkmcnt(0)
	s_barrier
	ds_read2_b64 v[6:9], v16 offset1:1
	ds_read2_b64 v[2:5], v16 offset0:2 offset1:3
	s_waitcnt lgkmcnt(1)
	v_add_u32_e32 v28, v7, v6
	v_add3_u32 v28, v28, v8, v9
	s_waitcnt lgkmcnt(0)
	v_add3_u32 v28, v28, v2, v3
	v_add3_u32 v5, v28, v4, v5
	s_nop 1
	v_mov_b32_dpp v28, v5 row_shr:1 row_mask:0xf bank_mask:0xf
	v_cndmask_b32_e64 v28, v28, 0, s[8:9]
	v_add_u32_e32 v5, v28, v5
	s_nop 1
	v_mov_b32_dpp v28, v5 row_shr:2 row_mask:0xf bank_mask:0xf
	v_cndmask_b32_e64 v28, 0, v28, s[10:11]
	v_add_u32_e32 v5, v5, v28
	;; [unrolled: 4-line block ×4, first 2 shown]
	s_nop 1
	v_mov_b32_dpp v28, v5 row_bcast:15 row_mask:0xf bank_mask:0xf
	v_cndmask_b32_e64 v28, v28, 0, s[16:17]
	v_add_u32_e32 v5, v5, v28
	s_nop 1
	v_mov_b32_dpp v28, v5 row_bcast:31 row_mask:0xf bank_mask:0xf
	v_cndmask_b32_e64 v28, 0, v28, s[4:5]
	v_add_u32_e32 v5, v5, v28
	s_and_saveexec_b64 s[24:25], s[22:23]
	s_cbranch_execz .LBB5_11
; %bb.10:                               ;   in Loop: Header=BB5_3 Depth=1
	ds_write_b32 v17, v5 offset:5184
.LBB5_11:                               ;   in Loop: Header=BB5_3 Depth=1
	s_or_b64 exec, exec, s[24:25]
	s_waitcnt lgkmcnt(0)
	s_barrier
	s_and_saveexec_b64 s[24:25], s[0:1]
	s_cbranch_execz .LBB5_13
; %bb.12:                               ;   in Loop: Header=BB5_3 Depth=1
	ds_read_b32 v28, v18 offset:5184
	s_waitcnt lgkmcnt(0)
	s_nop 0
	v_mov_b32_dpp v29, v28 row_shr:1 row_mask:0xf bank_mask:0xf
	v_cndmask_b32_e64 v29, v29, 0, s[18:19]
	v_add_u32_e32 v28, v29, v28
	s_nop 1
	v_mov_b32_dpp v29, v28 row_shr:2 row_mask:0xf bank_mask:0xf
	v_cndmask_b32_e64 v29, 0, v29, s[20:21]
	v_add_u32_e32 v28, v28, v29
	ds_write_b32 v18, v28 offset:5184
.LBB5_13:                               ;   in Loop: Header=BB5_3 Depth=1
	s_or_b64 exec, exec, s[24:25]
	v_mov_b32_e32 v28, 0
	s_waitcnt lgkmcnt(0)
	s_barrier
	s_and_saveexec_b64 s[24:25], s[2:3]
	s_cbranch_execz .LBB5_15
; %bb.14:                               ;   in Loop: Header=BB5_3 Depth=1
	ds_read_b32 v28, v17 offset:5180
.LBB5_15:                               ;   in Loop: Header=BB5_3 Depth=1
	s_or_b64 exec, exec, s[24:25]
	s_waitcnt lgkmcnt(0)
	v_add_u32_e32 v5, v28, v5
	ds_bpermute_b32 v5, v19, v5
	ds_read_b32 v29, v22 offset:5192
	s_add_i32 s26, s26, 4
	s_cmp_ge_u32 s26, s27
	s_waitcnt lgkmcnt(1)
	v_cndmask_b32_e64 v5, v5, v28, s[6:7]
	s_waitcnt lgkmcnt(0)
	v_lshl_add_u32 v28, v29, 16, v5
	v_add_u32_e32 v29, v28, v6
	v_add_u32_e32 v6, v29, v7
	;; [unrolled: 1-line block ×7, first 2 shown]
	ds_write2_b64 v16, v[28:29], v[6:7] offset1:1
	ds_write2_b64 v16, v[8:9], v[2:3] offset0:2 offset1:3
	s_waitcnt lgkmcnt(0)
	s_barrier
	ds_read_u16 v2, v25
	ds_read_u16 v3, v27
	v_lshlrev_b32_sdwa v4, v23, v24 dst_sel:DWORD dst_unused:UNUSED_PAD src0_sel:DWORD src1_sel:WORD_0
	s_waitcnt lgkmcnt(0)
	v_lshl_add_u32 v4, v2, 2, v4
	v_lshlrev_b32_sdwa v2, v23, v26 dst_sel:DWORD dst_unused:UNUSED_PAD src0_sel:DWORD src1_sel:WORD_0
	v_lshl_add_u32 v5, v3, 2, v2
	s_cbranch_scc0 .LBB5_2
; %bb.16:
                                        ; implicit-def: $vgpr2_vgpr3
.LBB5_17:
	s_mov_b64 s[24:25], 0
	s_barrier
	ds_write_b32 v4, v14
	ds_write_b32 v5, v15
	s_waitcnt lgkmcnt(0)
	s_barrier
.LBB5_18:
	s_and_b64 vcc, exec, s[24:25]
	s_cbranch_vccz .LBB5_36
; %bb.19:
	v_and_b32_e32 v20, 30, v20
	v_mov_b32_e32 v1, v10
	s_mov_b32 s34, 0
	v_mov_b32_e32 v21, 0
	s_movk_i32 s33, 0xa2
	v_add_u32_e32 v22, v18, v11
	s_branch .LBB5_21
.LBB5_20:                               ;   in Loop: Header=BB5_21 Depth=1
	v_lshlrev_b32_e32 v4, 2, v3
	s_barrier
	ds_write_b32 v4, v14
	v_lshlrev_b32_e32 v4, 2, v2
	ds_write_b32 v4, v15
	s_waitcnt lgkmcnt(0)
	s_barrier
	ds_read_b64 v[12:13], v22
	s_add_i32 s34, s34, 4
	s_waitcnt lgkmcnt(0)
	s_barrier
	s_cbranch_execz .LBB5_35
.LBB5_21:                               ; =>This Loop Header: Depth=1
                                        ;     Child Loop BB5_23 Depth 2
	v_pk_mov_b32 v[14:15], v[12:13], v[12:13] op_sel:[0,1]
	s_mov_b64 s[26:27], 0
	v_mov_b32_e32 v2, v18
	s_mov_b32 s35, 0
	s_branch .LBB5_23
.LBB5_22:                               ;   in Loop: Header=BB5_23 Depth=2
	s_or_b64 exec, exec, s[24:25]
	s_add_i32 s35, s35, 2
	v_cmp_eq_u32_e32 vcc, s35, v20
	s_or_b64 s[26:27], vcc, s[26:27]
	v_add_u32_e32 v2, 0x510, v2
	s_andn2_b64 exec, exec, s[26:27]
	s_cbranch_execz .LBB5_27
.LBB5_23:                               ;   Parent Loop BB5_21 Depth=1
                                        ; =>  This Inner Loop Header: Depth=2
	s_or_b32 s24, s35, 1
	v_cmp_le_u32_e32 vcc, s24, v1
	v_cmp_le_u32_e64 s[24:25], s35, v10
	s_and_saveexec_b64 s[30:31], s[24:25]
	s_cbranch_execz .LBB5_25
; %bb.24:                               ;   in Loop: Header=BB5_23 Depth=2
	ds_write_b32 v2, v21
.LBB5_25:                               ;   in Loop: Header=BB5_23 Depth=2
	s_or_b64 exec, exec, s[30:31]
	s_and_saveexec_b64 s[24:25], vcc
	s_cbranch_execz .LBB5_22
; %bb.26:                               ;   in Loop: Header=BB5_23 Depth=2
	ds_write_b32 v2, v21 offset:648
	s_branch .LBB5_22
.LBB5_27:                               ;   in Loop: Header=BB5_21 Depth=1
	s_or_b64 exec, exec, s[26:27]
	v_lshrrev_b32_e32 v2, s34, v14
	v_bfe_u32 v3, v14, s34, 3
	v_lshrrev_b32_e32 v2, 2, v2
	v_mad_u32_u24 v3, v3, s33, v0
	v_and_b32_e32 v2, 2, v2
	v_lshl_or_b32 v13, v3, 2, v2
	ds_read_u16 v12, v13
	v_lshrrev_b32_e32 v2, s34, v15
	v_bfe_u32 v3, v15, s34, 3
	v_lshrrev_b32_e32 v2, 2, v2
	v_mad_u32_u24 v3, v3, s33, v0
	s_waitcnt lgkmcnt(0)
	v_add_u16_e32 v4, 1, v12
	v_and_b32_e32 v2, 2, v2
	ds_write_b16 v13, v4
	v_lshl_or_b32 v24, v3, 2, v2
	ds_read_u16 v23, v24
	s_waitcnt lgkmcnt(0)
	v_add_u16_e32 v2, 1, v23
	ds_write_b16 v24, v2
	s_waitcnt lgkmcnt(0)
	s_barrier
	ds_read2_b64 v[6:9], v16 offset1:1
	ds_read2_b64 v[2:5], v16 offset0:2 offset1:3
	s_waitcnt lgkmcnt(1)
	v_add_u32_e32 v25, v7, v6
	v_add3_u32 v25, v25, v8, v9
	s_waitcnt lgkmcnt(0)
	v_add3_u32 v25, v25, v2, v3
	v_add3_u32 v5, v25, v4, v5
	s_nop 1
	v_mov_b32_dpp v25, v5 row_shr:1 row_mask:0xf bank_mask:0xf
	v_cndmask_b32_e64 v25, v25, 0, s[8:9]
	v_add_u32_e32 v5, v25, v5
	s_nop 1
	v_mov_b32_dpp v25, v5 row_shr:2 row_mask:0xf bank_mask:0xf
	v_cndmask_b32_e64 v25, 0, v25, s[10:11]
	v_add_u32_e32 v5, v5, v25
	;; [unrolled: 4-line block ×4, first 2 shown]
	s_nop 1
	v_mov_b32_dpp v25, v5 row_bcast:15 row_mask:0xf bank_mask:0xf
	v_cndmask_b32_e64 v25, v25, 0, s[16:17]
	v_add_u32_e32 v5, v5, v25
	s_nop 1
	v_mov_b32_dpp v25, v5 row_bcast:31 row_mask:0xf bank_mask:0xf
	v_cndmask_b32_e64 v25, 0, v25, s[4:5]
	v_add_u32_e32 v5, v5, v25
	s_and_saveexec_b64 s[24:25], s[22:23]
	s_cbranch_execz .LBB5_29
; %bb.28:                               ;   in Loop: Header=BB5_21 Depth=1
	ds_write_b32 v17, v5 offset:5184
.LBB5_29:                               ;   in Loop: Header=BB5_21 Depth=1
	s_or_b64 exec, exec, s[24:25]
	s_waitcnt lgkmcnt(0)
	s_barrier
	s_and_saveexec_b64 s[24:25], s[0:1]
	s_cbranch_execz .LBB5_31
; %bb.30:                               ;   in Loop: Header=BB5_21 Depth=1
	ds_read_b32 v25, v18 offset:5184
	s_waitcnt lgkmcnt(0)
	s_nop 0
	v_mov_b32_dpp v26, v25 row_shr:1 row_mask:0xf bank_mask:0xf
	v_cndmask_b32_e64 v26, v26, 0, s[18:19]
	v_add_u32_e32 v25, v26, v25
	s_nop 1
	v_mov_b32_dpp v26, v25 row_shr:2 row_mask:0xf bank_mask:0xf
	v_cndmask_b32_e64 v26, 0, v26, s[20:21]
	v_add_u32_e32 v25, v25, v26
	ds_write_b32 v18, v25 offset:5184
.LBB5_31:                               ;   in Loop: Header=BB5_21 Depth=1
	s_or_b64 exec, exec, s[24:25]
	v_mov_b32_e32 v25, 0
	s_waitcnt lgkmcnt(0)
	s_barrier
	s_and_saveexec_b64 s[24:25], s[2:3]
	s_cbranch_execz .LBB5_33
; %bb.32:                               ;   in Loop: Header=BB5_21 Depth=1
	ds_read_b32 v25, v17 offset:5180
.LBB5_33:                               ;   in Loop: Header=BB5_21 Depth=1
	s_or_b64 exec, exec, s[24:25]
	s_waitcnt lgkmcnt(0)
	v_add_u32_e32 v5, v25, v5
	ds_bpermute_b32 v5, v19, v5
	ds_read_b32 v26, v21 offset:5192
	s_cmp_gt_u32 s34, 27
	s_waitcnt lgkmcnt(1)
	v_cndmask_b32_e64 v5, v5, v25, s[6:7]
	s_waitcnt lgkmcnt(0)
	v_lshl_add_u32 v26, v26, 16, v5
	v_add_u32_e32 v27, v26, v6
	v_add_u32_e32 v6, v27, v7
	;; [unrolled: 1-line block ×7, first 2 shown]
	ds_write2_b64 v16, v[26:27], v[6:7] offset1:1
	ds_write2_b64 v16, v[8:9], v[2:3] offset0:2 offset1:3
	s_waitcnt lgkmcnt(0)
	s_barrier
	ds_read_u16 v2, v13
	ds_read_u16 v4, v24
	s_waitcnt lgkmcnt(1)
	v_add_u32_sdwa v3, v2, v12 dst_sel:DWORD dst_unused:UNUSED_PAD src0_sel:DWORD src1_sel:WORD_0
	s_waitcnt lgkmcnt(0)
	v_add_u32_sdwa v2, v4, v23 dst_sel:DWORD dst_unused:UNUSED_PAD src0_sel:DWORD src1_sel:WORD_0
	s_cbranch_scc0 .LBB5_20
; %bb.34:
                                        ; implicit-def: $sgpr34
                                        ; implicit-def: $vgpr12_vgpr13
.LBB5_35:
	v_lshlrev_b32_e32 v0, 2, v3
	s_barrier
	ds_write_b32 v0, v14
	v_lshlrev_b32_e32 v0, 2, v2
	ds_write_b32 v0, v15
	s_waitcnt lgkmcnt(0)
	s_barrier
.LBB5_36:
	ds_read2_b32 v[0:1], v11 offset1:162
	s_waitcnt lgkmcnt(0)
	v_not_b32_e32 v0, v0
	v_not_b32_e32 v1, v1
	global_store_dword v11, v0, s[28:29]
	global_store_dword v11, v1, s[28:29] offset:648
	s_endpgm
	.section	.rodata,"a",@progbits
	.p2align	6, 0x0
	.amdhsa_kernel _Z15sort_key_kernelILj162ELj2ELb1ELb1EjEvPT3_jj
		.amdhsa_group_segment_fixed_size 5200
		.amdhsa_private_segment_fixed_size 0
		.amdhsa_kernarg_size 16
		.amdhsa_user_sgpr_count 6
		.amdhsa_user_sgpr_private_segment_buffer 1
		.amdhsa_user_sgpr_dispatch_ptr 0
		.amdhsa_user_sgpr_queue_ptr 0
		.amdhsa_user_sgpr_kernarg_segment_ptr 1
		.amdhsa_user_sgpr_dispatch_id 0
		.amdhsa_user_sgpr_flat_scratch_init 0
		.amdhsa_user_sgpr_kernarg_preload_length 0
		.amdhsa_user_sgpr_kernarg_preload_offset 0
		.amdhsa_user_sgpr_private_segment_size 0
		.amdhsa_uses_dynamic_stack 0
		.amdhsa_system_sgpr_private_segment_wavefront_offset 0
		.amdhsa_system_sgpr_workgroup_id_x 1
		.amdhsa_system_sgpr_workgroup_id_y 0
		.amdhsa_system_sgpr_workgroup_id_z 0
		.amdhsa_system_sgpr_workgroup_info 0
		.amdhsa_system_vgpr_workitem_id 0
		.amdhsa_next_free_vgpr 30
		.amdhsa_next_free_sgpr 36
		.amdhsa_accum_offset 32
		.amdhsa_reserve_vcc 1
		.amdhsa_reserve_flat_scratch 0
		.amdhsa_float_round_mode_32 0
		.amdhsa_float_round_mode_16_64 0
		.amdhsa_float_denorm_mode_32 3
		.amdhsa_float_denorm_mode_16_64 3
		.amdhsa_dx10_clamp 1
		.amdhsa_ieee_mode 1
		.amdhsa_fp16_overflow 0
		.amdhsa_tg_split 0
		.amdhsa_exception_fp_ieee_invalid_op 0
		.amdhsa_exception_fp_denorm_src 0
		.amdhsa_exception_fp_ieee_div_zero 0
		.amdhsa_exception_fp_ieee_overflow 0
		.amdhsa_exception_fp_ieee_underflow 0
		.amdhsa_exception_fp_ieee_inexact 0
		.amdhsa_exception_int_div_zero 0
	.end_amdhsa_kernel
	.section	.text._Z15sort_key_kernelILj162ELj2ELb1ELb1EjEvPT3_jj,"axG",@progbits,_Z15sort_key_kernelILj162ELj2ELb1ELb1EjEvPT3_jj,comdat
.Lfunc_end5:
	.size	_Z15sort_key_kernelILj162ELj2ELb1ELb1EjEvPT3_jj, .Lfunc_end5-_Z15sort_key_kernelILj162ELj2ELb1ELb1EjEvPT3_jj
                                        ; -- End function
	.section	.AMDGPU.csdata,"",@progbits
; Kernel info:
; codeLenInByte = 2096
; NumSgprs: 40
; NumVgprs: 30
; NumAgprs: 0
; TotalNumVgprs: 30
; ScratchSize: 0
; MemoryBound: 0
; FloatMode: 240
; IeeeMode: 1
; LDSByteSize: 5200 bytes/workgroup (compile time only)
; SGPRBlocks: 4
; VGPRBlocks: 3
; NumSGPRsForWavesPerEU: 40
; NumVGPRsForWavesPerEU: 30
; AccumOffset: 32
; Occupancy: 8
; WaveLimiterHint : 1
; COMPUTE_PGM_RSRC2:SCRATCH_EN: 0
; COMPUTE_PGM_RSRC2:USER_SGPR: 6
; COMPUTE_PGM_RSRC2:TRAP_HANDLER: 0
; COMPUTE_PGM_RSRC2:TGID_X_EN: 1
; COMPUTE_PGM_RSRC2:TGID_Y_EN: 0
; COMPUTE_PGM_RSRC2:TGID_Z_EN: 0
; COMPUTE_PGM_RSRC2:TIDIG_COMP_CNT: 0
; COMPUTE_PGM_RSRC3_GFX90A:ACCUM_OFFSET: 7
; COMPUTE_PGM_RSRC3_GFX90A:TG_SPLIT: 0
	.section	.text._Z15sort_key_kernelILj102ELj3ELb0ELb1EtEvPT3_jj,"axG",@progbits,_Z15sort_key_kernelILj102ELj3ELb0ELb1EtEvPT3_jj,comdat
	.protected	_Z15sort_key_kernelILj102ELj3ELb0ELb1EtEvPT3_jj ; -- Begin function _Z15sort_key_kernelILj102ELj3ELb0ELb1EtEvPT3_jj
	.globl	_Z15sort_key_kernelILj102ELj3ELb0ELb1EtEvPT3_jj
	.p2align	8
	.type	_Z15sort_key_kernelILj102ELj3ELb0ELb1EtEvPT3_jj,@function
_Z15sort_key_kernelILj102ELj3ELb0ELb1EtEvPT3_jj: ; @_Z15sort_key_kernelILj102ELj3ELb0ELb1EtEvPT3_jj
; %bb.0:
	s_load_dwordx4 s[28:31], s[4:5], 0x0
	s_mul_i32 s0, s6, 0x132
	s_mov_b32 s1, 0
	s_lshl_b64 s[0:1], s[0:1], 1
	v_mul_u32_u24_e32 v1, 3, v0
	s_waitcnt lgkmcnt(0)
	s_add_u32 s26, s28, s0
	s_addc_u32 s27, s29, s1
	v_lshlrev_b32_e32 v1, 1, v1
	global_load_dword v2, v1, s[26:27]
	global_load_ushort v3, v1, s[26:27] offset:4
	v_mbcnt_lo_u32_b32 v4, -1, 0
	v_mbcnt_hi_u32_b32 v4, -1, v4
	v_add_u32_e32 v9, -1, v4
	v_and_b32_e32 v10, 64, v4
	s_movk_i32 s0, 0x330
	v_lshrrev_b32_e32 v6, 4, v0
	v_cmp_lt_i32_e32 vcc, v9, v10
	v_cmp_gt_u32_e64 s[22:23], s0, v0
	v_and_b32_e32 v7, 15, v4
	v_and_b32_e32 v8, 16, v4
	v_cmp_lt_u32_e64 s[8:9], 31, v4
	v_cmp_eq_u32_e64 s[0:1], 0, v4
	v_and_b32_e32 v17, 4, v6
	v_and_b32_e32 v6, 1, v4
	v_cndmask_b32_e32 v4, v9, v4, vcc
	s_cmp_eq_u32 s30, 0
	v_and_b32_e32 v5, 64, v0
	v_lshlrev_b32_e32 v18, 2, v4
	v_mov_b32_e32 v4, s27
	v_add_co_u32_e32 v10, vcc, s26, v1
	s_cselect_b64 s[26:27], -1, 0
	s_cmp_eq_u32 s31, 16
	v_min_u32_e32 v5, 38, v5
	s_cselect_b64 s[28:29], -1, 0
	s_movk_i32 s6, 0xffe4
	v_lshlrev_b32_e32 v16, 5, v0
	v_add_u32_e32 v5, 63, v5
	v_addc_co_u32_e32 v11, vcc, 0, v4, vcc
	s_and_b64 s[26:27], s[26:27], s[28:29]
	s_mov_b64 s[24:25], -1
	v_cmp_gt_u32_e64 s[4:5], 2, v0
	v_cmp_lt_u32_e64 s[2:3], 63, v0
	v_mul_i32_i24_e32 v19, 0xffffffe4, v0
	v_lshlrev_b32_e32 v13, 1, v0
	v_mad_i32_i24 v15, v0, s6, v16
	v_cmp_eq_u32_e64 s[20:21], 0, v7
	v_cmp_lt_u32_e64 s[18:19], 1, v7
	v_cmp_lt_u32_e64 s[16:17], 3, v7
	;; [unrolled: 1-line block ×3, first 2 shown]
	v_cmp_eq_u32_e64 s[12:13], 0, v8
	v_cmp_eq_u32_e64 s[6:7], 0, v6
	;; [unrolled: 1-line block ×3, first 2 shown]
	s_and_b64 vcc, exec, s[26:27]
	s_waitcnt vmcnt(1)
	v_xor_b32_e32 v21, -1, v2
	s_waitcnt vmcnt(0)
	v_xor_b32_e32 v20, -1, v3
	s_cbranch_vccnz .LBB6_40
; %bb.1:
	s_movk_i32 s24, 0x2ca
	v_mov_b32_e32 v1, 0x2ca
	v_cmp_gt_u32_e32 vcc, s24, v0
	v_subb_co_u32_e64 v1, s[24:25], v1, v0, vcc
	s_mov_b32 s24, 0x2828283
	v_mul_hi_u32 v1, v1, s24
	v_addc_co_u32_e32 v12, vcc, 0, v1, vcc
	v_lshrrev_b32_e32 v1, 1, v12
	v_add_u32_e32 v2, 1, v1
	v_and_b32_e32 v3, 3, v2
	v_and_b32_e32 v22, 12, v2
	v_mov_b32_e32 v2, 0x330
	v_mov_b32_e32 v1, v12
	v_cmp_lt_u32_e64 s[24:25], 5, v12
	v_cmp_ne_u32_e64 s[26:27], 0, v3
	v_lshl_add_u32 v23, v0, 2, v2
	v_lshl_add_u32 v14, v0, 5, v19
	s_movk_i32 s33, 0x198
	v_mul_u32_u24_e32 v24, 0x198, v3
	v_mov_b32_e32 v25, 0
	v_mov_b32_e32 v26, 1
	;; [unrolled: 1-line block ×4, first 2 shown]
	s_branch .LBB6_3
.LBB6_2:                                ;   in Loop: Header=BB6_3 Depth=1
	v_add_u32_e32 v6, v15, v13
	s_barrier
	ds_write_b16 v2, v28
	ds_write_b16 v3, v29
	;; [unrolled: 1-line block ×3, first 2 shown]
	s_waitcnt lgkmcnt(0)
	s_barrier
	ds_read_b32 v28, v6
	ds_read_u16 v6, v6 offset:4
	s_waitcnt lgkmcnt(0)
	s_barrier
	s_cbranch_execz .LBB6_39
.LBB6_3:                                ; =>This Loop Header: Depth=1
                                        ;     Child Loop BB6_7 Depth 2
                                        ;     Child Loop BB6_27 Depth 2
	v_mov_b32_e32 v27, v6
	s_and_saveexec_b64 s[34:35], s[22:23]
	s_cbranch_execz .LBB6_31
; %bb.4:                                ;   in Loop: Header=BB6_3 Depth=1
	v_mov_b32_e32 v5, 0
	s_and_saveexec_b64 s[36:37], s[24:25]
	s_cbranch_execz .LBB6_24
; %bb.5:                                ;   in Loop: Header=BB6_3 Depth=1
	s_mov_b32 s42, 0
	s_mov_b64 s[38:39], 0
	v_mov_b32_e32 v2, v22
	v_mov_b32_e32 v3, v23
	;; [unrolled: 1-line block ×3, first 2 shown]
	s_branch .LBB6_7
.LBB6_6:                                ;   in Loop: Header=BB6_7 Depth=2
	s_or_b64 exec, exec, s[28:29]
	v_add_u32_e32 v2, -4, v2
	s_add_i32 s28, s42, 8
	v_cmp_eq_u32_e32 vcc, 0, v2
	s_add_i32 s42, s43, 2
	v_add_u32_e32 v4, 0xcc0, v4
	v_add_u32_e32 v3, 0xcc0, v3
	s_or_b64 s[38:39], vcc, s[38:39]
	v_mov_b32_e32 v5, s28
	s_andn2_b64 exec, exec, s[38:39]
	s_cbranch_execz .LBB6_23
.LBB6_7:                                ;   Parent Loop BB6_3 Depth=1
                                        ; =>  This Inner Loop Header: Depth=2
	s_or_b32 s28, s42, 1
	v_cmp_le_u32_e32 vcc, s28, v1
	v_cmp_le_u32_e64 s[28:29], s42, v12
	s_and_saveexec_b64 s[40:41], s[28:29]
	s_cbranch_execz .LBB6_9
; %bb.8:                                ;   in Loop: Header=BB6_7 Depth=2
	ds_write_b32 v4, v25
.LBB6_9:                                ;   in Loop: Header=BB6_7 Depth=2
	s_or_b64 exec, exec, s[40:41]
	s_and_saveexec_b64 s[28:29], vcc
	s_cbranch_execz .LBB6_11
; %bb.10:                               ;   in Loop: Header=BB6_7 Depth=2
	ds_write_b32 v4, v25 offset:408
.LBB6_11:                               ;   in Loop: Header=BB6_7 Depth=2
	s_or_b64 exec, exec, s[28:29]
	s_add_i32 s43, s42, 2
	s_add_i32 s28, s42, 3
	v_cmp_le_u32_e32 vcc, s28, v1
	v_cmp_le_u32_e64 s[28:29], s43, v12
	s_and_saveexec_b64 s[40:41], s[28:29]
	s_cbranch_execz .LBB6_13
; %bb.12:                               ;   in Loop: Header=BB6_7 Depth=2
	ds_write_b32 v3, v25
.LBB6_13:                               ;   in Loop: Header=BB6_7 Depth=2
	s_or_b64 exec, exec, s[40:41]
	s_and_saveexec_b64 s[28:29], vcc
	s_cbranch_execz .LBB6_15
; %bb.14:                               ;   in Loop: Header=BB6_7 Depth=2
	ds_write_b32 v3, v25 offset:408
.LBB6_15:                               ;   in Loop: Header=BB6_7 Depth=2
	s_or_b64 exec, exec, s[28:29]
	s_add_i32 s44, s43, 2
	s_add_i32 s43, s43, 3
	v_cmp_le_u32_e32 vcc, s43, v1
	v_cmp_le_u32_e64 s[28:29], s44, v12
	s_and_saveexec_b64 s[40:41], s[28:29]
	s_cbranch_execz .LBB6_17
; %bb.16:                               ;   in Loop: Header=BB6_7 Depth=2
	ds_write_b32 v3, v25 offset:816
.LBB6_17:                               ;   in Loop: Header=BB6_7 Depth=2
	s_or_b64 exec, exec, s[40:41]
	s_and_saveexec_b64 s[28:29], vcc
	s_cbranch_execz .LBB6_19
; %bb.18:                               ;   in Loop: Header=BB6_7 Depth=2
	ds_write_b32 v3, v25 offset:1224
.LBB6_19:                               ;   in Loop: Header=BB6_7 Depth=2
	s_or_b64 exec, exec, s[28:29]
	s_add_i32 s43, s44, 2
	s_add_i32 s44, s44, 3
	v_cmp_le_u32_e32 vcc, s44, v1
	v_cmp_le_u32_e64 s[28:29], s43, v12
	s_and_saveexec_b64 s[40:41], s[28:29]
	s_cbranch_execz .LBB6_21
; %bb.20:                               ;   in Loop: Header=BB6_7 Depth=2
	ds_write_b32 v3, v25 offset:1632
.LBB6_21:                               ;   in Loop: Header=BB6_7 Depth=2
	s_or_b64 exec, exec, s[40:41]
	s_and_saveexec_b64 s[28:29], vcc
	s_cbranch_execz .LBB6_6
; %bb.22:                               ;   in Loop: Header=BB6_7 Depth=2
	ds_write_b32 v3, v25 offset:2040
	s_branch .LBB6_6
.LBB6_23:                               ;   in Loop: Header=BB6_3 Depth=1
	s_or_b64 exec, exec, s[38:39]
.LBB6_24:                               ;   in Loop: Header=BB6_3 Depth=1
	s_or_b64 exec, exec, s[36:37]
	s_and_b64 exec, exec, s[26:27]
	s_cbranch_execz .LBB6_31
; %bb.25:                               ;   in Loop: Header=BB6_3 Depth=1
	v_mad_u64_u32 v[2:3], s[28:29], v5, s33, v[14:15]
	s_mov_b64 s[36:37], 0
	v_mov_b32_e32 v3, v24
	s_branch .LBB6_27
.LBB6_26:                               ;   in Loop: Header=BB6_27 Depth=2
	s_or_b64 exec, exec, s[28:29]
	v_add_u32_e32 v3, 0xfffffe68, v3
	v_cmp_eq_u32_e32 vcc, 0, v3
	v_add_u32_e32 v5, 2, v5
	s_or_b64 s[36:37], vcc, s[36:37]
	v_add_u32_e32 v2, 0x330, v2
	s_andn2_b64 exec, exec, s[36:37]
	s_cbranch_execz .LBB6_31
.LBB6_27:                               ;   Parent Loop BB6_3 Depth=1
                                        ; =>  This Inner Loop Header: Depth=2
	v_or_b32_e32 v4, 1, v5
	v_cmp_le_u32_e32 vcc, v4, v1
	v_cmp_le_u32_e64 s[28:29], v5, v12
	s_and_saveexec_b64 s[38:39], s[28:29]
	s_cbranch_execz .LBB6_29
; %bb.28:                               ;   in Loop: Header=BB6_27 Depth=2
	ds_write_b32 v2, v25
.LBB6_29:                               ;   in Loop: Header=BB6_27 Depth=2
	s_or_b64 exec, exec, s[38:39]
	s_and_saveexec_b64 s[28:29], vcc
	s_cbranch_execz .LBB6_26
; %bb.30:                               ;   in Loop: Header=BB6_27 Depth=2
	ds_write_b32 v2, v25 offset:408
	s_branch .LBB6_26
.LBB6_31:                               ;   in Loop: Header=BB6_3 Depth=1
	s_or_b64 exec, exec, s[34:35]
	s_sub_i32 s28, s31, s30
	s_min_u32 s28, s28, 4
	s_lshl_b32 s28, -1, s28
	s_not_b32 s28, s28
	v_lshrrev_b32_sdwa v2, s30, v28 dst_sel:DWORD dst_unused:UNUSED_PAD src0_sel:DWORD src1_sel:WORD_0
	v_and_b32_e32 v2, s28, v2
	v_and_b32_e32 v3, 7, v2
	v_mul_u32_u24_e32 v3, 0x66, v3
	v_lshrrev_b32_e32 v2, 3, v2
	v_add_lshl_u32 v3, v3, v0, 1
	v_add_lshl_u32 v31, v3, v2, 1
	ds_read_u16 v30, v31
	v_lshrrev_b32_e32 v29, 16, v28
	v_lshrrev_b32_e32 v2, s30, v29
	v_and_b32_e32 v2, s28, v2
	s_waitcnt lgkmcnt(0)
	v_add_u16_e32 v3, 1, v30
	ds_write_b16 v31, v3
	v_and_b32_e32 v3, 7, v2
	v_mul_u32_u24_e32 v3, 0x66, v3
	v_lshrrev_b32_e32 v2, 3, v2
	v_add_lshl_u32 v3, v3, v0, 1
	v_add_lshl_u32 v33, v3, v2, 1
	ds_read_u16 v32, v33
	s_waitcnt lgkmcnt(0)
	v_add_u16_e32 v2, 1, v32
	ds_write_b16 v33, v2
	v_lshrrev_b32_sdwa v2, s30, v27 dst_sel:DWORD dst_unused:UNUSED_PAD src0_sel:DWORD src1_sel:WORD_0
	v_and_b32_e32 v2, s28, v2
	v_and_b32_e32 v3, 7, v2
	v_mul_u32_u24_e32 v3, 0x66, v3
	v_lshrrev_b32_e32 v2, 3, v2
	v_add_lshl_u32 v3, v3, v0, 1
	v_add_lshl_u32 v35, v3, v2, 1
	ds_read_u16 v34, v35
	s_waitcnt lgkmcnt(0)
	v_add_u16_e32 v2, 1, v34
	ds_write_b16 v35, v2
	s_waitcnt lgkmcnt(0)
	s_barrier
	ds_read2_b64 v[6:9], v16 offset1:1
	ds_read2_b64 v[2:5], v16 offset0:2 offset1:3
	s_waitcnt lgkmcnt(1)
	v_add_u32_e32 v36, v7, v6
	v_add3_u32 v36, v36, v8, v9
	s_waitcnt lgkmcnt(0)
	v_add3_u32 v36, v36, v2, v3
	v_add3_u32 v5, v36, v4, v5
	s_nop 1
	v_mov_b32_dpp v36, v5 row_shr:1 row_mask:0xf bank_mask:0xf
	v_cndmask_b32_e64 v36, v36, 0, s[20:21]
	v_add_u32_e32 v5, v36, v5
	s_nop 1
	v_mov_b32_dpp v36, v5 row_shr:2 row_mask:0xf bank_mask:0xf
	v_cndmask_b32_e64 v36, 0, v36, s[18:19]
	v_add_u32_e32 v5, v5, v36
	;; [unrolled: 4-line block ×4, first 2 shown]
	s_nop 1
	v_mov_b32_dpp v36, v5 row_bcast:15 row_mask:0xf bank_mask:0xf
	v_cndmask_b32_e64 v36, v36, 0, s[12:13]
	v_add_u32_e32 v5, v5, v36
	s_nop 1
	v_mov_b32_dpp v36, v5 row_bcast:31 row_mask:0xf bank_mask:0xf
	v_cndmask_b32_e64 v36, 0, v36, s[8:9]
	v_add_u32_e32 v5, v5, v36
	s_and_saveexec_b64 s[28:29], s[10:11]
	s_cbranch_execz .LBB6_33
; %bb.32:                               ;   in Loop: Header=BB6_3 Depth=1
	ds_write_b32 v17, v5 offset:3264
.LBB6_33:                               ;   in Loop: Header=BB6_3 Depth=1
	s_or_b64 exec, exec, s[28:29]
	s_waitcnt lgkmcnt(0)
	s_barrier
	s_and_saveexec_b64 s[28:29], s[4:5]
	s_cbranch_execz .LBB6_35
; %bb.34:                               ;   in Loop: Header=BB6_3 Depth=1
	ds_read_b32 v36, v15 offset:3264
	s_waitcnt lgkmcnt(0)
	s_nop 0
	v_mov_b32_dpp v37, v36 row_shr:1 row_mask:0xf bank_mask:0xf
	v_cndmask_b32_e64 v37, v37, 0, s[6:7]
	v_add_u32_e32 v36, v37, v36
	ds_write_b32 v15, v36 offset:3264
.LBB6_35:                               ;   in Loop: Header=BB6_3 Depth=1
	s_or_b64 exec, exec, s[28:29]
	v_mov_b32_e32 v36, 0
	s_waitcnt lgkmcnt(0)
	s_barrier
	s_and_saveexec_b64 s[28:29], s[2:3]
	s_cbranch_execz .LBB6_37
; %bb.36:                               ;   in Loop: Header=BB6_3 Depth=1
	ds_read_b32 v36, v17 offset:3260
.LBB6_37:                               ;   in Loop: Header=BB6_3 Depth=1
	s_or_b64 exec, exec, s[28:29]
	s_waitcnt lgkmcnt(0)
	v_add_u32_e32 v5, v36, v5
	ds_bpermute_b32 v37, v18, v5
	ds_read_b32 v38, v25 offset:3268
	s_add_i32 s30, s30, 4
	v_mov_b32_e32 v5, v28
	s_cmp_ge_u32 s30, s31
	s_waitcnt lgkmcnt(1)
	v_cndmask_b32_e64 v36, v37, v36, s[0:1]
	s_waitcnt lgkmcnt(0)
	v_lshl_add_u32 v36, v38, 16, v36
	v_add_u32_e32 v37, v36, v6
	v_add_u32_e32 v6, v37, v7
	;; [unrolled: 1-line block ×7, first 2 shown]
	ds_write2_b64 v16, v[36:37], v[6:7] offset1:1
	ds_write2_b64 v16, v[8:9], v[2:3] offset0:2 offset1:3
	s_waitcnt lgkmcnt(0)
	s_barrier
	ds_read_u16 v2, v31
	ds_read_u16 v3, v33
	;; [unrolled: 1-line block ×3, first 2 shown]
	v_lshlrev_b32_sdwa v6, v26, v30 dst_sel:DWORD dst_unused:UNUSED_PAD src0_sel:DWORD src1_sel:WORD_0
	s_waitcnt lgkmcnt(0)
	v_lshl_add_u32 v2, v2, 1, v6
	v_lshlrev_b32_sdwa v6, v26, v32 dst_sel:DWORD dst_unused:UNUSED_PAD src0_sel:DWORD src1_sel:WORD_0
	v_lshl_add_u32 v3, v3, 1, v6
	v_lshlrev_b32_sdwa v6, v26, v34 dst_sel:DWORD dst_unused:UNUSED_PAD src0_sel:DWORD src1_sel:WORD_0
	v_lshl_add_u32 v4, v4, 1, v6
	s_cbranch_scc0 .LBB6_2
; %bb.38:
                                        ; implicit-def: $vgpr6
                                        ; implicit-def: $vgpr28
.LBB6_39:
	s_mov_b64 s[24:25], 0
	s_barrier
	ds_write_b16 v2, v5
	ds_write_b16 v3, v29
	ds_write_b16 v4, v27
	s_waitcnt lgkmcnt(0)
	s_barrier
.LBB6_40:
	s_and_b64 vcc, exec, s[24:25]
	s_cbranch_vccz .LBB6_178
; %bb.41:
	s_and_saveexec_b64 s[26:27], s[22:23]
	s_cbranch_execz .LBB6_69
; %bb.42:
	s_movk_i32 s24, 0x2ca
	v_mov_b32_e32 v1, 0x2ca
	v_cmp_gt_u32_e32 vcc, s24, v0
	v_subb_co_u32_e64 v1, s[24:25], v1, v0, vcc
	s_mov_b32 s24, 0x2828283
	v_mul_hi_u32 v2, v1, s24
	v_cndmask_b32_e64 v3, 0, 1, vcc
	v_addc_co_u32_e64 v1, s[24:25], 0, v2, vcc
	v_add_u16_e32 v2, v2, v3
	v_lshrrev_b16_e32 v2, 1, v2
	s_mov_b32 s33, 0
	v_mov_b32_e32 v7, 0
	v_add_u32_e32 v2, 1, v2
	v_cmp_lt_u32_e32 vcc, 5, v1
	s_and_saveexec_b64 s[28:29], vcc
	s_cbranch_execz .LBB6_62
; %bb.43:
	v_mov_b32_e32 v4, 0x330
	v_and_b32_e32 v3, 0xfffc, v2
	v_lshl_add_u32 v4, v0, 2, v4
	s_mov_b64 s[30:31], 0
	v_mov_b32_e32 v5, 0
	v_mov_b32_e32 v6, v15
	s_branch .LBB6_45
.LBB6_44:                               ;   in Loop: Header=BB6_45 Depth=1
	s_or_b64 exec, exec, s[24:25]
	v_add_u32_e32 v3, -4, v3
	s_add_i32 s24, s33, 8
	v_cmp_eq_u32_e32 vcc, 0, v3
	s_add_i32 s33, s36, 2
	v_add_u32_e32 v6, 0xcc0, v6
	v_add_u32_e32 v4, 0xcc0, v4
	s_or_b64 s[30:31], vcc, s[30:31]
	v_mov_b32_e32 v7, s24
	s_andn2_b64 exec, exec, s[30:31]
	s_cbranch_execz .LBB6_61
.LBB6_45:                               ; =>This Inner Loop Header: Depth=1
	s_or_b32 s24, s33, 1
	v_cmp_le_u32_e32 vcc, s24, v1
	v_cmp_le_u32_e64 s[24:25], s33, v1
	s_and_saveexec_b64 s[34:35], s[24:25]
	s_cbranch_execz .LBB6_47
; %bb.46:                               ;   in Loop: Header=BB6_45 Depth=1
	ds_write_b32 v6, v5
.LBB6_47:                               ;   in Loop: Header=BB6_45 Depth=1
	s_or_b64 exec, exec, s[34:35]
	s_and_saveexec_b64 s[24:25], vcc
	s_cbranch_execz .LBB6_49
; %bb.48:                               ;   in Loop: Header=BB6_45 Depth=1
	ds_write_b32 v6, v5 offset:408
.LBB6_49:                               ;   in Loop: Header=BB6_45 Depth=1
	s_or_b64 exec, exec, s[24:25]
	s_add_i32 s36, s33, 2
	s_add_i32 s24, s33, 3
	v_cmp_le_u32_e32 vcc, s24, v1
	v_cmp_le_u32_e64 s[24:25], s36, v1
	s_and_saveexec_b64 s[34:35], s[24:25]
	s_cbranch_execz .LBB6_51
; %bb.50:                               ;   in Loop: Header=BB6_45 Depth=1
	ds_write_b32 v4, v5
.LBB6_51:                               ;   in Loop: Header=BB6_45 Depth=1
	s_or_b64 exec, exec, s[34:35]
	s_and_saveexec_b64 s[24:25], vcc
	s_cbranch_execz .LBB6_53
; %bb.52:                               ;   in Loop: Header=BB6_45 Depth=1
	ds_write_b32 v4, v5 offset:408
.LBB6_53:                               ;   in Loop: Header=BB6_45 Depth=1
	s_or_b64 exec, exec, s[24:25]
	s_add_i32 s37, s36, 2
	s_add_i32 s36, s36, 3
	v_cmp_le_u32_e32 vcc, s36, v1
	v_cmp_le_u32_e64 s[24:25], s37, v1
	s_and_saveexec_b64 s[34:35], s[24:25]
	s_cbranch_execz .LBB6_55
; %bb.54:                               ;   in Loop: Header=BB6_45 Depth=1
	ds_write_b32 v4, v5 offset:816
.LBB6_55:                               ;   in Loop: Header=BB6_45 Depth=1
	s_or_b64 exec, exec, s[34:35]
	s_and_saveexec_b64 s[24:25], vcc
	s_cbranch_execz .LBB6_57
; %bb.56:                               ;   in Loop: Header=BB6_45 Depth=1
	ds_write_b32 v4, v5 offset:1224
.LBB6_57:                               ;   in Loop: Header=BB6_45 Depth=1
	s_or_b64 exec, exec, s[24:25]
	s_add_i32 s36, s37, 2
	s_add_i32 s37, s37, 3
	v_cmp_le_u32_e32 vcc, s37, v1
	v_cmp_le_u32_e64 s[24:25], s36, v1
	s_and_saveexec_b64 s[34:35], s[24:25]
	s_cbranch_execz .LBB6_59
; %bb.58:                               ;   in Loop: Header=BB6_45 Depth=1
	ds_write_b32 v4, v5 offset:1632
.LBB6_59:                               ;   in Loop: Header=BB6_45 Depth=1
	s_or_b64 exec, exec, s[34:35]
	s_and_saveexec_b64 s[24:25], vcc
	s_cbranch_execz .LBB6_44
; %bb.60:                               ;   in Loop: Header=BB6_45 Depth=1
	ds_write_b32 v4, v5 offset:2040
	s_branch .LBB6_44
.LBB6_61:
	s_or_b64 exec, exec, s[30:31]
.LBB6_62:
	s_or_b64 exec, exec, s[28:29]
	v_and_b32_e32 v3, 3, v2
	v_cmp_ne_u32_e32 vcc, 0, v3
	s_and_b64 exec, exec, vcc
	s_cbranch_execz .LBB6_69
; %bb.63:
	s_movk_i32 s24, 0x198
	v_mul_lo_u32 v2, v7, s24
	v_add3_u32 v2, v19, v2, v16
	v_mul_u32_u24_e32 v3, 0x198, v3
	s_mov_b64 s[28:29], 0
	v_mov_b32_e32 v4, 0
	s_branch .LBB6_65
.LBB6_64:                               ;   in Loop: Header=BB6_65 Depth=1
	s_or_b64 exec, exec, s[24:25]
	v_add_u32_e32 v3, 0xfffffe68, v3
	v_cmp_eq_u32_e32 vcc, 0, v3
	v_add_u32_e32 v7, 2, v7
	s_or_b64 s[28:29], vcc, s[28:29]
	v_add_u32_e32 v2, 0x330, v2
	s_andn2_b64 exec, exec, s[28:29]
	s_cbranch_execz .LBB6_69
.LBB6_65:                               ; =>This Inner Loop Header: Depth=1
	v_or_b32_e32 v5, 1, v7
	v_cmp_le_u32_e32 vcc, v5, v1
	v_cmp_le_u32_e64 s[24:25], v7, v1
	s_and_saveexec_b64 s[30:31], s[24:25]
	s_cbranch_execz .LBB6_67
; %bb.66:                               ;   in Loop: Header=BB6_65 Depth=1
	ds_write_b32 v2, v4
.LBB6_67:                               ;   in Loop: Header=BB6_65 Depth=1
	s_or_b64 exec, exec, s[30:31]
	s_and_saveexec_b64 s[24:25], vcc
	s_cbranch_execz .LBB6_64
; %bb.68:                               ;   in Loop: Header=BB6_65 Depth=1
	ds_write_b32 v2, v4 offset:408
	s_branch .LBB6_64
.LBB6_69:
	s_or_b64 exec, exec, s[26:27]
	v_and_b32_e32 v1, 7, v21
	s_movk_i32 s24, 0x66
	v_lshrrev_b32_e32 v2, 2, v21
	v_mad_u32_u24 v1, v1, s24, v0
	v_and_b32_e32 v2, 2, v2
	v_lshl_or_b32 v12, v1, 2, v2
	ds_read_u16 v1, v12
	v_bfe_u32 v2, v21, 16, 3
	v_mad_u32_u24 v2, v2, s24, v0
	s_waitcnt lgkmcnt(0)
	v_add_u16_e32 v3, 1, v1
	ds_write_b16 v12, v3
	v_lshrrev_b32_e32 v3, 18, v21
	v_and_b32_e32 v3, 2, v3
	v_lshl_or_b32 v23, v2, 2, v3
	ds_read_u16 v14, v23
	v_mov_b32_e32 v3, 2
	v_lshrrev_b32_sdwa v3, v3, v20 dst_sel:DWORD dst_unused:UNUSED_PAD src0_sel:DWORD src1_sel:WORD_0
	v_and_b32_e32 v3, 2, v3
	s_waitcnt lgkmcnt(0)
	v_add_u16_e32 v2, 1, v14
	ds_write_b16 v23, v2
	v_mov_b32_e32 v2, 7
	v_and_b32_sdwa v2, v20, v2 dst_sel:DWORD dst_unused:UNUSED_PAD src0_sel:WORD_0 src1_sel:DWORD
	v_mad_u32_u24 v2, v2, s24, v0
	v_lshl_or_b32 v24, v2, 2, v3
	ds_read_u16 v22, v24
	s_waitcnt lgkmcnt(0)
	v_add_u16_e32 v2, 1, v22
	ds_write_b16 v24, v2
	s_waitcnt lgkmcnt(0)
	s_barrier
	ds_read2_b64 v[6:9], v16 offset1:1
	ds_read2_b64 v[2:5], v16 offset0:2 offset1:3
	s_waitcnt lgkmcnt(1)
	v_add_u32_e32 v25, v7, v6
	v_add3_u32 v25, v25, v8, v9
	s_waitcnt lgkmcnt(0)
	v_add3_u32 v25, v25, v2, v3
	v_add3_u32 v5, v25, v4, v5
	s_nop 1
	v_mov_b32_dpp v25, v5 row_shr:1 row_mask:0xf bank_mask:0xf
	v_cndmask_b32_e64 v25, v25, 0, s[20:21]
	v_add_u32_e32 v5, v25, v5
	s_nop 1
	v_mov_b32_dpp v25, v5 row_shr:2 row_mask:0xf bank_mask:0xf
	v_cndmask_b32_e64 v25, 0, v25, s[18:19]
	v_add_u32_e32 v5, v5, v25
	;; [unrolled: 4-line block ×4, first 2 shown]
	s_nop 1
	v_mov_b32_dpp v25, v5 row_bcast:15 row_mask:0xf bank_mask:0xf
	v_cndmask_b32_e64 v25, v25, 0, s[12:13]
	v_add_u32_e32 v5, v5, v25
	s_nop 1
	v_mov_b32_dpp v25, v5 row_bcast:31 row_mask:0xf bank_mask:0xf
	v_cndmask_b32_e64 v25, 0, v25, s[8:9]
	v_add_u32_e32 v25, v5, v25
	s_and_saveexec_b64 s[24:25], s[10:11]
	s_cbranch_execz .LBB6_71
; %bb.70:
	ds_write_b32 v17, v25 offset:3264
.LBB6_71:
	s_or_b64 exec, exec, s[24:25]
	s_waitcnt lgkmcnt(0)
	s_barrier
	s_and_saveexec_b64 s[24:25], s[4:5]
	s_cbranch_execz .LBB6_73
; %bb.72:
	ds_read_b32 v5, v15 offset:3264
	s_waitcnt lgkmcnt(0)
	s_nop 0
	v_mov_b32_dpp v26, v5 row_shr:1 row_mask:0xf bank_mask:0xf
	v_cndmask_b32_e64 v26, v26, 0, s[6:7]
	v_add_u32_e32 v5, v26, v5
	ds_write_b32 v15, v5 offset:3264
.LBB6_73:
	s_or_b64 exec, exec, s[24:25]
	v_lshrrev_b32_e32 v5, 16, v21
	v_mov_b32_e32 v26, 0
	v_mov_b32_e32 v27, 0
	s_waitcnt lgkmcnt(0)
	s_barrier
	s_and_saveexec_b64 s[24:25], s[2:3]
	s_cbranch_execz .LBB6_75
; %bb.74:
	ds_read_b32 v27, v17 offset:3260
.LBB6_75:
	s_or_b64 exec, exec, s[24:25]
	s_waitcnt lgkmcnt(0)
	v_add_u32_e32 v25, v27, v25
	ds_bpermute_b32 v25, v18, v25
	ds_read_b32 v26, v26 offset:3268
	s_waitcnt lgkmcnt(1)
	v_cndmask_b32_e64 v25, v25, v27, s[0:1]
	s_waitcnt lgkmcnt(0)
	v_lshl_add_u32 v26, v26, 16, v25
	v_add_u32_e32 v27, v26, v6
	v_add_u32_e32 v6, v27, v7
	;; [unrolled: 1-line block ×7, first 2 shown]
	ds_write2_b64 v16, v[26:27], v[6:7] offset1:1
	ds_write2_b64 v16, v[8:9], v[2:3] offset0:2 offset1:3
	s_waitcnt lgkmcnt(0)
	s_barrier
	ds_read_u16 v2, v12
	ds_read_u16 v3, v23
	;; [unrolled: 1-line block ×3, first 2 shown]
	v_mov_b32_e32 v6, 1
	v_lshlrev_b32_sdwa v1, v6, v1 dst_sel:DWORD dst_unused:UNUSED_PAD src0_sel:DWORD src1_sel:WORD_0
	s_waitcnt lgkmcnt(2)
	v_lshl_add_u32 v1, v2, 1, v1
	s_waitcnt lgkmcnt(0)
	s_barrier
	ds_write_b16 v1, v21
	v_lshlrev_b32_sdwa v1, v6, v14 dst_sel:DWORD dst_unused:UNUSED_PAD src0_sel:DWORD src1_sel:WORD_0
	v_lshl_add_u32 v1, v3, 1, v1
	ds_write_b16 v1, v5
	v_lshlrev_b32_sdwa v1, v6, v22 dst_sel:DWORD dst_unused:UNUSED_PAD src0_sel:DWORD src1_sel:WORD_0
	v_lshl_add_u32 v1, v4, 1, v1
	ds_write_b16 v1, v20
	v_add_u32_e32 v1, v15, v13
	s_waitcnt lgkmcnt(0)
	s_barrier
	ds_read_u16 v20, v1
	ds_read_u16 v14, v1 offset:2
	ds_read_u16 v12, v1 offset:4
	s_waitcnt lgkmcnt(0)
	s_barrier
	s_and_saveexec_b64 s[26:27], s[22:23]
	s_cbranch_execz .LBB6_103
; %bb.76:
	s_movk_i32 s24, 0x2ca
	v_mov_b32_e32 v2, 0x2ca
	v_cmp_gt_u32_e32 vcc, s24, v0
	v_subb_co_u32_e64 v2, s[24:25], v2, v0, vcc
	s_mov_b32 s24, 0x2828283
	v_mul_hi_u32 v3, v2, s24
	v_cndmask_b32_e64 v4, 0, 1, vcc
	v_addc_co_u32_e64 v2, s[24:25], 0, v3, vcc
	v_add_u16_e32 v3, v3, v4
	v_lshrrev_b16_e32 v3, 1, v3
	s_mov_b32 s33, 0
	v_mov_b32_e32 v8, 0
	v_add_u32_e32 v3, 1, v3
	v_cmp_lt_u32_e32 vcc, 5, v2
	s_and_saveexec_b64 s[28:29], vcc
	s_cbranch_execz .LBB6_96
; %bb.77:
	v_mov_b32_e32 v5, 0x330
	v_and_b32_e32 v4, 0xfffc, v3
	v_lshl_add_u32 v5, v0, 2, v5
	s_mov_b64 s[30:31], 0
	v_mov_b32_e32 v6, 0
	v_mov_b32_e32 v7, v15
	s_branch .LBB6_79
.LBB6_78:                               ;   in Loop: Header=BB6_79 Depth=1
	s_or_b64 exec, exec, s[24:25]
	v_add_u32_e32 v4, -4, v4
	s_add_i32 s24, s33, 8
	v_cmp_eq_u32_e32 vcc, 0, v4
	s_add_i32 s33, s36, 2
	v_add_u32_e32 v7, 0xcc0, v7
	v_add_u32_e32 v5, 0xcc0, v5
	s_or_b64 s[30:31], vcc, s[30:31]
	v_mov_b32_e32 v8, s24
	s_andn2_b64 exec, exec, s[30:31]
	s_cbranch_execz .LBB6_95
.LBB6_79:                               ; =>This Inner Loop Header: Depth=1
	s_or_b32 s24, s33, 1
	v_cmp_le_u32_e32 vcc, s24, v2
	v_cmp_le_u32_e64 s[24:25], s33, v2
	s_and_saveexec_b64 s[34:35], s[24:25]
	s_cbranch_execz .LBB6_81
; %bb.80:                               ;   in Loop: Header=BB6_79 Depth=1
	ds_write_b32 v7, v6
.LBB6_81:                               ;   in Loop: Header=BB6_79 Depth=1
	s_or_b64 exec, exec, s[34:35]
	s_and_saveexec_b64 s[24:25], vcc
	s_cbranch_execz .LBB6_83
; %bb.82:                               ;   in Loop: Header=BB6_79 Depth=1
	ds_write_b32 v7, v6 offset:408
.LBB6_83:                               ;   in Loop: Header=BB6_79 Depth=1
	s_or_b64 exec, exec, s[24:25]
	s_add_i32 s36, s33, 2
	s_add_i32 s24, s33, 3
	v_cmp_le_u32_e32 vcc, s24, v2
	v_cmp_le_u32_e64 s[24:25], s36, v2
	s_and_saveexec_b64 s[34:35], s[24:25]
	s_cbranch_execz .LBB6_85
; %bb.84:                               ;   in Loop: Header=BB6_79 Depth=1
	ds_write_b32 v5, v6
.LBB6_85:                               ;   in Loop: Header=BB6_79 Depth=1
	s_or_b64 exec, exec, s[34:35]
	s_and_saveexec_b64 s[24:25], vcc
	s_cbranch_execz .LBB6_87
; %bb.86:                               ;   in Loop: Header=BB6_79 Depth=1
	ds_write_b32 v5, v6 offset:408
.LBB6_87:                               ;   in Loop: Header=BB6_79 Depth=1
	s_or_b64 exec, exec, s[24:25]
	s_add_i32 s37, s36, 2
	s_add_i32 s36, s36, 3
	v_cmp_le_u32_e32 vcc, s36, v2
	v_cmp_le_u32_e64 s[24:25], s37, v2
	s_and_saveexec_b64 s[34:35], s[24:25]
	s_cbranch_execz .LBB6_89
; %bb.88:                               ;   in Loop: Header=BB6_79 Depth=1
	ds_write_b32 v5, v6 offset:816
.LBB6_89:                               ;   in Loop: Header=BB6_79 Depth=1
	s_or_b64 exec, exec, s[34:35]
	s_and_saveexec_b64 s[24:25], vcc
	s_cbranch_execz .LBB6_91
; %bb.90:                               ;   in Loop: Header=BB6_79 Depth=1
	ds_write_b32 v5, v6 offset:1224
.LBB6_91:                               ;   in Loop: Header=BB6_79 Depth=1
	s_or_b64 exec, exec, s[24:25]
	s_add_i32 s36, s37, 2
	s_add_i32 s37, s37, 3
	v_cmp_le_u32_e32 vcc, s37, v2
	v_cmp_le_u32_e64 s[24:25], s36, v2
	s_and_saveexec_b64 s[34:35], s[24:25]
	s_cbranch_execz .LBB6_93
; %bb.92:                               ;   in Loop: Header=BB6_79 Depth=1
	ds_write_b32 v5, v6 offset:1632
.LBB6_93:                               ;   in Loop: Header=BB6_79 Depth=1
	s_or_b64 exec, exec, s[34:35]
	s_and_saveexec_b64 s[24:25], vcc
	s_cbranch_execz .LBB6_78
; %bb.94:                               ;   in Loop: Header=BB6_79 Depth=1
	ds_write_b32 v5, v6 offset:2040
	s_branch .LBB6_78
.LBB6_95:
	s_or_b64 exec, exec, s[30:31]
.LBB6_96:
	s_or_b64 exec, exec, s[28:29]
	v_and_b32_e32 v4, 3, v3
	v_cmp_ne_u32_e32 vcc, 0, v4
	s_and_b64 exec, exec, vcc
	s_cbranch_execz .LBB6_103
; %bb.97:
	s_movk_i32 s24, 0x198
	v_mul_lo_u32 v3, v8, s24
	v_add3_u32 v3, v19, v3, v16
	v_mul_u32_u24_e32 v4, 0x198, v4
	s_mov_b64 s[28:29], 0
	v_mov_b32_e32 v5, 0
	s_branch .LBB6_99
.LBB6_98:                               ;   in Loop: Header=BB6_99 Depth=1
	s_or_b64 exec, exec, s[24:25]
	v_add_u32_e32 v4, 0xfffffe68, v4
	v_cmp_eq_u32_e32 vcc, 0, v4
	v_add_u32_e32 v8, 2, v8
	s_or_b64 s[28:29], vcc, s[28:29]
	v_add_u32_e32 v3, 0x330, v3
	s_andn2_b64 exec, exec, s[28:29]
	s_cbranch_execz .LBB6_103
.LBB6_99:                               ; =>This Inner Loop Header: Depth=1
	v_or_b32_e32 v6, 1, v8
	v_cmp_le_u32_e32 vcc, v6, v2
	v_cmp_le_u32_e64 s[24:25], v8, v2
	s_and_saveexec_b64 s[30:31], s[24:25]
	s_cbranch_execz .LBB6_101
; %bb.100:                              ;   in Loop: Header=BB6_99 Depth=1
	ds_write_b32 v3, v5
.LBB6_101:                              ;   in Loop: Header=BB6_99 Depth=1
	s_or_b64 exec, exec, s[30:31]
	s_and_saveexec_b64 s[24:25], vcc
	s_cbranch_execz .LBB6_98
; %bb.102:                              ;   in Loop: Header=BB6_99 Depth=1
	ds_write_b32 v3, v5 offset:408
	s_branch .LBB6_98
.LBB6_103:
	s_or_b64 exec, exec, s[26:27]
	v_lshrrev_b16_e32 v2, 4, v20
	v_and_b32_e32 v3, 7, v2
	s_movk_i32 s24, 0x66
	v_lshrrev_b32_e32 v2, 2, v2
	v_mad_u32_u24 v3, v3, s24, v0
	v_and_b32_e32 v2, 2, v2
	v_lshl_or_b32 v22, v3, 2, v2
	ds_read_u16 v21, v22
	v_lshrrev_b16_e32 v2, 4, v14
	s_waitcnt lgkmcnt(0)
	v_add_u16_e32 v3, 1, v21
	ds_write_b16 v22, v3
	v_and_b32_e32 v3, 7, v2
	v_lshrrev_b32_e32 v2, 2, v2
	v_mad_u32_u24 v3, v3, s24, v0
	v_and_b32_e32 v2, 2, v2
	v_lshl_or_b32 v25, v3, 2, v2
	ds_read_u16 v23, v25
	s_waitcnt lgkmcnt(0)
	v_add_u16_e32 v2, 1, v23
	ds_write_b16 v25, v2
	v_lshrrev_b16_e32 v2, 4, v12
	v_and_b32_e32 v3, 7, v2
	v_lshrrev_b32_e32 v2, 2, v2
	v_mad_u32_u24 v3, v3, s24, v0
	v_and_b32_e32 v2, 2, v2
	v_lshl_or_b32 v26, v3, 2, v2
	ds_read_u16 v24, v26
	s_waitcnt lgkmcnt(0)
	v_add_u16_e32 v2, 1, v24
	ds_write_b16 v26, v2
	s_waitcnt lgkmcnt(0)
	s_barrier
	ds_read2_b64 v[6:9], v16 offset1:1
	ds_read2_b64 v[2:5], v16 offset0:2 offset1:3
	s_waitcnt lgkmcnt(1)
	v_add_u32_e32 v27, v7, v6
	v_add3_u32 v27, v27, v8, v9
	s_waitcnt lgkmcnt(0)
	v_add3_u32 v27, v27, v2, v3
	v_add3_u32 v5, v27, v4, v5
	s_nop 1
	v_mov_b32_dpp v27, v5 row_shr:1 row_mask:0xf bank_mask:0xf
	v_cndmask_b32_e64 v27, v27, 0, s[20:21]
	v_add_u32_e32 v5, v27, v5
	s_nop 1
	v_mov_b32_dpp v27, v5 row_shr:2 row_mask:0xf bank_mask:0xf
	v_cndmask_b32_e64 v27, 0, v27, s[18:19]
	v_add_u32_e32 v5, v5, v27
	;; [unrolled: 4-line block ×4, first 2 shown]
	s_nop 1
	v_mov_b32_dpp v27, v5 row_bcast:15 row_mask:0xf bank_mask:0xf
	v_cndmask_b32_e64 v27, v27, 0, s[12:13]
	v_add_u32_e32 v5, v5, v27
	s_nop 1
	v_mov_b32_dpp v27, v5 row_bcast:31 row_mask:0xf bank_mask:0xf
	v_cndmask_b32_e64 v27, 0, v27, s[8:9]
	v_add_u32_e32 v5, v5, v27
	s_and_saveexec_b64 s[24:25], s[10:11]
	s_cbranch_execz .LBB6_105
; %bb.104:
	ds_write_b32 v17, v5 offset:3264
.LBB6_105:
	s_or_b64 exec, exec, s[24:25]
	s_waitcnt lgkmcnt(0)
	s_barrier
	s_and_saveexec_b64 s[24:25], s[4:5]
	s_cbranch_execz .LBB6_107
; %bb.106:
	ds_read_b32 v27, v15 offset:3264
	s_waitcnt lgkmcnt(0)
	s_nop 0
	v_mov_b32_dpp v28, v27 row_shr:1 row_mask:0xf bank_mask:0xf
	v_cndmask_b32_e64 v28, v28, 0, s[6:7]
	v_add_u32_e32 v27, v28, v27
	ds_write_b32 v15, v27 offset:3264
.LBB6_107:
	s_or_b64 exec, exec, s[24:25]
	v_mov_b32_e32 v27, 0
	v_mov_b32_e32 v28, 0
	s_waitcnt lgkmcnt(0)
	s_barrier
	s_and_saveexec_b64 s[24:25], s[2:3]
	s_cbranch_execz .LBB6_109
; %bb.108:
	ds_read_b32 v28, v17 offset:3260
.LBB6_109:
	s_or_b64 exec, exec, s[24:25]
	s_waitcnt lgkmcnt(0)
	v_add_u32_e32 v5, v28, v5
	ds_bpermute_b32 v5, v18, v5
	ds_read_b32 v27, v27 offset:3268
	s_waitcnt lgkmcnt(1)
	v_cndmask_b32_e64 v5, v5, v28, s[0:1]
	s_waitcnt lgkmcnt(0)
	v_lshl_add_u32 v28, v27, 16, v5
	v_add_u32_e32 v29, v28, v6
	v_add_u32_e32 v6, v29, v7
	;; [unrolled: 1-line block ×7, first 2 shown]
	ds_write2_b64 v16, v[28:29], v[6:7] offset1:1
	ds_write2_b64 v16, v[8:9], v[2:3] offset0:2 offset1:3
	s_waitcnt lgkmcnt(0)
	s_barrier
	ds_read_u16 v2, v22
	ds_read_u16 v3, v25
	;; [unrolled: 1-line block ×3, first 2 shown]
	v_mov_b32_e32 v5, 1
	v_lshlrev_b32_sdwa v6, v5, v21 dst_sel:DWORD dst_unused:UNUSED_PAD src0_sel:DWORD src1_sel:WORD_0
	s_waitcnt lgkmcnt(2)
	v_lshl_add_u32 v2, v2, 1, v6
	s_waitcnt lgkmcnt(0)
	s_barrier
	ds_write_b16 v2, v20
	v_lshlrev_b32_sdwa v2, v5, v23 dst_sel:DWORD dst_unused:UNUSED_PAD src0_sel:DWORD src1_sel:WORD_0
	v_lshl_add_u32 v2, v3, 1, v2
	ds_write_b16 v2, v14
	v_lshlrev_b32_sdwa v2, v5, v24 dst_sel:DWORD dst_unused:UNUSED_PAD src0_sel:DWORD src1_sel:WORD_0
	v_lshl_add_u32 v2, v4, 1, v2
	ds_write_b16 v2, v12
	s_waitcnt lgkmcnt(0)
	s_barrier
	ds_read_u16 v20, v1
	ds_read_u16 v14, v1 offset:2
	ds_read_u16 v12, v1 offset:4
	s_waitcnt lgkmcnt(0)
	s_barrier
	s_and_saveexec_b64 s[26:27], s[22:23]
	s_cbranch_execz .LBB6_137
; %bb.110:
	s_movk_i32 s24, 0x2ca
	v_mov_b32_e32 v2, 0x2ca
	v_cmp_gt_u32_e32 vcc, s24, v0
	v_subb_co_u32_e64 v2, s[24:25], v2, v0, vcc
	s_mov_b32 s24, 0x2828283
	v_mul_hi_u32 v3, v2, s24
	v_cndmask_b32_e64 v4, 0, 1, vcc
	v_addc_co_u32_e64 v2, s[24:25], 0, v3, vcc
	v_add_u16_e32 v3, v3, v4
	v_lshrrev_b16_e32 v3, 1, v3
	s_mov_b32 s33, 0
	v_mov_b32_e32 v8, 0
	v_add_u32_e32 v3, 1, v3
	v_cmp_lt_u32_e32 vcc, 5, v2
	s_and_saveexec_b64 s[28:29], vcc
	s_cbranch_execz .LBB6_130
; %bb.111:
	v_mov_b32_e32 v5, 0x330
	v_and_b32_e32 v4, 0xfffc, v3
	v_lshl_add_u32 v5, v0, 2, v5
	s_mov_b64 s[30:31], 0
	v_mov_b32_e32 v6, 0
	v_mov_b32_e32 v7, v15
	s_branch .LBB6_113
.LBB6_112:                              ;   in Loop: Header=BB6_113 Depth=1
	s_or_b64 exec, exec, s[24:25]
	v_add_u32_e32 v4, -4, v4
	s_add_i32 s24, s33, 8
	v_cmp_eq_u32_e32 vcc, 0, v4
	s_add_i32 s33, s36, 2
	v_add_u32_e32 v7, 0xcc0, v7
	v_add_u32_e32 v5, 0xcc0, v5
	s_or_b64 s[30:31], vcc, s[30:31]
	v_mov_b32_e32 v8, s24
	s_andn2_b64 exec, exec, s[30:31]
	s_cbranch_execz .LBB6_129
.LBB6_113:                              ; =>This Inner Loop Header: Depth=1
	s_or_b32 s24, s33, 1
	v_cmp_le_u32_e32 vcc, s24, v2
	v_cmp_le_u32_e64 s[24:25], s33, v2
	s_and_saveexec_b64 s[34:35], s[24:25]
	s_cbranch_execz .LBB6_115
; %bb.114:                              ;   in Loop: Header=BB6_113 Depth=1
	ds_write_b32 v7, v6
.LBB6_115:                              ;   in Loop: Header=BB6_113 Depth=1
	s_or_b64 exec, exec, s[34:35]
	s_and_saveexec_b64 s[24:25], vcc
	s_cbranch_execz .LBB6_117
; %bb.116:                              ;   in Loop: Header=BB6_113 Depth=1
	ds_write_b32 v7, v6 offset:408
.LBB6_117:                              ;   in Loop: Header=BB6_113 Depth=1
	s_or_b64 exec, exec, s[24:25]
	s_add_i32 s36, s33, 2
	s_add_i32 s24, s33, 3
	v_cmp_le_u32_e32 vcc, s24, v2
	v_cmp_le_u32_e64 s[24:25], s36, v2
	s_and_saveexec_b64 s[34:35], s[24:25]
	s_cbranch_execz .LBB6_119
; %bb.118:                              ;   in Loop: Header=BB6_113 Depth=1
	ds_write_b32 v5, v6
.LBB6_119:                              ;   in Loop: Header=BB6_113 Depth=1
	s_or_b64 exec, exec, s[34:35]
	s_and_saveexec_b64 s[24:25], vcc
	s_cbranch_execz .LBB6_121
; %bb.120:                              ;   in Loop: Header=BB6_113 Depth=1
	ds_write_b32 v5, v6 offset:408
.LBB6_121:                              ;   in Loop: Header=BB6_113 Depth=1
	s_or_b64 exec, exec, s[24:25]
	s_add_i32 s37, s36, 2
	s_add_i32 s36, s36, 3
	v_cmp_le_u32_e32 vcc, s36, v2
	v_cmp_le_u32_e64 s[24:25], s37, v2
	s_and_saveexec_b64 s[34:35], s[24:25]
	s_cbranch_execz .LBB6_123
; %bb.122:                              ;   in Loop: Header=BB6_113 Depth=1
	ds_write_b32 v5, v6 offset:816
.LBB6_123:                              ;   in Loop: Header=BB6_113 Depth=1
	s_or_b64 exec, exec, s[34:35]
	s_and_saveexec_b64 s[24:25], vcc
	s_cbranch_execz .LBB6_125
; %bb.124:                              ;   in Loop: Header=BB6_113 Depth=1
	ds_write_b32 v5, v6 offset:1224
.LBB6_125:                              ;   in Loop: Header=BB6_113 Depth=1
	s_or_b64 exec, exec, s[24:25]
	s_add_i32 s36, s37, 2
	s_add_i32 s37, s37, 3
	v_cmp_le_u32_e32 vcc, s37, v2
	v_cmp_le_u32_e64 s[24:25], s36, v2
	s_and_saveexec_b64 s[34:35], s[24:25]
	s_cbranch_execz .LBB6_127
; %bb.126:                              ;   in Loop: Header=BB6_113 Depth=1
	ds_write_b32 v5, v6 offset:1632
.LBB6_127:                              ;   in Loop: Header=BB6_113 Depth=1
	s_or_b64 exec, exec, s[34:35]
	s_and_saveexec_b64 s[24:25], vcc
	s_cbranch_execz .LBB6_112
; %bb.128:                              ;   in Loop: Header=BB6_113 Depth=1
	ds_write_b32 v5, v6 offset:2040
	s_branch .LBB6_112
.LBB6_129:
	s_or_b64 exec, exec, s[30:31]
.LBB6_130:
	s_or_b64 exec, exec, s[28:29]
	v_and_b32_e32 v4, 3, v3
	v_cmp_ne_u32_e32 vcc, 0, v4
	s_and_b64 exec, exec, vcc
	s_cbranch_execz .LBB6_137
; %bb.131:
	s_movk_i32 s24, 0x198
	v_mul_lo_u32 v3, v8, s24
	v_add3_u32 v3, v19, v3, v16
	v_mul_u32_u24_e32 v4, 0x198, v4
	s_mov_b64 s[28:29], 0
	v_mov_b32_e32 v5, 0
	s_branch .LBB6_133
.LBB6_132:                              ;   in Loop: Header=BB6_133 Depth=1
	s_or_b64 exec, exec, s[24:25]
	v_add_u32_e32 v4, 0xfffffe68, v4
	v_cmp_eq_u32_e32 vcc, 0, v4
	v_add_u32_e32 v8, 2, v8
	s_or_b64 s[28:29], vcc, s[28:29]
	v_add_u32_e32 v3, 0x330, v3
	s_andn2_b64 exec, exec, s[28:29]
	s_cbranch_execz .LBB6_137
.LBB6_133:                              ; =>This Inner Loop Header: Depth=1
	v_or_b32_e32 v6, 1, v8
	v_cmp_le_u32_e32 vcc, v6, v2
	v_cmp_le_u32_e64 s[24:25], v8, v2
	s_and_saveexec_b64 s[30:31], s[24:25]
	s_cbranch_execz .LBB6_135
; %bb.134:                              ;   in Loop: Header=BB6_133 Depth=1
	ds_write_b32 v3, v5
.LBB6_135:                              ;   in Loop: Header=BB6_133 Depth=1
	s_or_b64 exec, exec, s[30:31]
	s_and_saveexec_b64 s[24:25], vcc
	s_cbranch_execz .LBB6_132
; %bb.136:                              ;   in Loop: Header=BB6_133 Depth=1
	ds_write_b32 v3, v5 offset:408
	s_branch .LBB6_132
.LBB6_137:
	s_or_b64 exec, exec, s[26:27]
	v_mov_b32_e32 v2, 7
	v_mov_b32_e32 v4, 2
	v_and_b32_sdwa v3, v20, v2 dst_sel:DWORD dst_unused:UNUSED_PAD src0_sel:BYTE_1 src1_sel:DWORD
	s_movk_i32 s24, 0x66
	v_lshrrev_b32_sdwa v5, v4, v20 dst_sel:DWORD dst_unused:UNUSED_PAD src0_sel:DWORD src1_sel:BYTE_1
	v_mad_u32_u24 v3, v3, s24, v0
	v_and_b32_e32 v5, 2, v5
	v_lshl_or_b32 v23, v3, 2, v5
	ds_read_u16 v21, v23
	v_lshrrev_b32_sdwa v5, v4, v14 dst_sel:DWORD dst_unused:UNUSED_PAD src0_sel:DWORD src1_sel:BYTE_1
	v_and_b32_e32 v5, 2, v5
	s_waitcnt lgkmcnt(0)
	v_add_u16_e32 v3, 1, v21
	ds_write_b16 v23, v3
	v_and_b32_sdwa v3, v14, v2 dst_sel:DWORD dst_unused:UNUSED_PAD src0_sel:BYTE_1 src1_sel:DWORD
	v_mad_u32_u24 v3, v3, s24, v0
	v_lshl_or_b32 v25, v3, 2, v5
	ds_read_u16 v22, v25
	v_and_b32_sdwa v2, v12, v2 dst_sel:DWORD dst_unused:UNUSED_PAD src0_sel:BYTE_1 src1_sel:DWORD
	v_mad_u32_u24 v2, v2, s24, v0
	s_waitcnt lgkmcnt(0)
	v_add_u16_e32 v3, 1, v22
	ds_write_b16 v25, v3
	v_lshrrev_b32_sdwa v3, v4, v12 dst_sel:DWORD dst_unused:UNUSED_PAD src0_sel:DWORD src1_sel:BYTE_1
	v_and_b32_e32 v3, 2, v3
	v_lshl_or_b32 v26, v2, 2, v3
	ds_read_u16 v24, v26
	s_waitcnt lgkmcnt(0)
	v_add_u16_e32 v2, 1, v24
	ds_write_b16 v26, v2
	s_waitcnt lgkmcnt(0)
	s_barrier
	ds_read2_b64 v[6:9], v16 offset1:1
	ds_read2_b64 v[2:5], v16 offset0:2 offset1:3
	s_waitcnt lgkmcnt(1)
	v_add_u32_e32 v27, v7, v6
	v_add3_u32 v27, v27, v8, v9
	s_waitcnt lgkmcnt(0)
	v_add3_u32 v27, v27, v2, v3
	v_add3_u32 v5, v27, v4, v5
	s_nop 1
	v_mov_b32_dpp v27, v5 row_shr:1 row_mask:0xf bank_mask:0xf
	v_cndmask_b32_e64 v27, v27, 0, s[20:21]
	v_add_u32_e32 v5, v27, v5
	s_nop 1
	v_mov_b32_dpp v27, v5 row_shr:2 row_mask:0xf bank_mask:0xf
	v_cndmask_b32_e64 v27, 0, v27, s[18:19]
	v_add_u32_e32 v5, v5, v27
	;; [unrolled: 4-line block ×4, first 2 shown]
	s_nop 1
	v_mov_b32_dpp v27, v5 row_bcast:15 row_mask:0xf bank_mask:0xf
	v_cndmask_b32_e64 v27, v27, 0, s[12:13]
	v_add_u32_e32 v5, v5, v27
	s_nop 1
	v_mov_b32_dpp v27, v5 row_bcast:31 row_mask:0xf bank_mask:0xf
	v_cndmask_b32_e64 v27, 0, v27, s[8:9]
	v_add_u32_e32 v5, v5, v27
	s_and_saveexec_b64 s[24:25], s[10:11]
	s_cbranch_execz .LBB6_139
; %bb.138:
	ds_write_b32 v17, v5 offset:3264
.LBB6_139:
	s_or_b64 exec, exec, s[24:25]
	s_waitcnt lgkmcnt(0)
	s_barrier
	s_and_saveexec_b64 s[24:25], s[4:5]
	s_cbranch_execz .LBB6_141
; %bb.140:
	ds_read_b32 v27, v15 offset:3264
	s_waitcnt lgkmcnt(0)
	s_nop 0
	v_mov_b32_dpp v28, v27 row_shr:1 row_mask:0xf bank_mask:0xf
	v_cndmask_b32_e64 v28, v28, 0, s[6:7]
	v_add_u32_e32 v27, v28, v27
	ds_write_b32 v15, v27 offset:3264
.LBB6_141:
	s_or_b64 exec, exec, s[24:25]
	v_mov_b32_e32 v27, 0
	v_mov_b32_e32 v28, 0
	s_waitcnt lgkmcnt(0)
	s_barrier
	s_and_saveexec_b64 s[24:25], s[2:3]
	s_cbranch_execz .LBB6_143
; %bb.142:
	ds_read_b32 v28, v17 offset:3260
.LBB6_143:
	s_or_b64 exec, exec, s[24:25]
	s_waitcnt lgkmcnt(0)
	v_add_u32_e32 v5, v28, v5
	ds_bpermute_b32 v5, v18, v5
	ds_read_b32 v27, v27 offset:3268
	s_waitcnt lgkmcnt(1)
	v_cndmask_b32_e64 v5, v5, v28, s[0:1]
	s_waitcnt lgkmcnt(0)
	v_lshl_add_u32 v28, v27, 16, v5
	v_add_u32_e32 v29, v28, v6
	v_add_u32_e32 v6, v29, v7
	;; [unrolled: 1-line block ×7, first 2 shown]
	ds_write2_b64 v16, v[28:29], v[6:7] offset1:1
	ds_write2_b64 v16, v[8:9], v[2:3] offset0:2 offset1:3
	s_waitcnt lgkmcnt(0)
	s_barrier
	ds_read_u16 v2, v23
	ds_read_u16 v3, v25
	;; [unrolled: 1-line block ×3, first 2 shown]
	v_mov_b32_e32 v5, 1
	v_lshlrev_b32_sdwa v6, v5, v21 dst_sel:DWORD dst_unused:UNUSED_PAD src0_sel:DWORD src1_sel:WORD_0
	s_waitcnt lgkmcnt(2)
	v_lshl_add_u32 v2, v2, 1, v6
	s_waitcnt lgkmcnt(0)
	s_barrier
	ds_write_b16 v2, v20
	v_lshlrev_b32_sdwa v2, v5, v22 dst_sel:DWORD dst_unused:UNUSED_PAD src0_sel:DWORD src1_sel:WORD_0
	v_lshl_add_u32 v2, v3, 1, v2
	ds_write_b16 v2, v14
	v_lshlrev_b32_sdwa v2, v5, v24 dst_sel:DWORD dst_unused:UNUSED_PAD src0_sel:DWORD src1_sel:WORD_0
	v_lshl_add_u32 v2, v4, 1, v2
	ds_write_b16 v2, v12
	s_waitcnt lgkmcnt(0)
	s_barrier
	ds_read_u16 v12, v1
	ds_read_u16 v9, v1 offset:2
	ds_read_u16 v8, v1 offset:4
	s_waitcnt lgkmcnt(0)
	s_barrier
	s_and_saveexec_b64 s[24:25], s[22:23]
	s_cbranch_execz .LBB6_171
; %bb.144:
	s_movk_i32 s22, 0x2ca
	v_mov_b32_e32 v1, 0x2ca
	v_cmp_gt_u32_e32 vcc, s22, v0
	v_subb_co_u32_e64 v1, s[22:23], v1, v0, vcc
	s_mov_b32 s22, 0x2828283
	v_mul_hi_u32 v2, v1, s22
	v_cndmask_b32_e64 v3, 0, 1, vcc
	v_addc_co_u32_e64 v1, s[22:23], 0, v2, vcc
	v_add_u16_e32 v2, v2, v3
	v_lshrrev_b16_e32 v2, 1, v2
	s_mov_b32 s33, 0
	v_mov_b32_e32 v7, 0
	v_add_u32_e32 v2, 1, v2
	v_cmp_lt_u32_e32 vcc, 5, v1
	s_and_saveexec_b64 s[26:27], vcc
	s_cbranch_execz .LBB6_164
; %bb.145:
	v_mov_b32_e32 v4, 0x330
	v_and_b32_e32 v3, 0xfffc, v2
	v_lshl_add_u32 v4, v0, 2, v4
	s_mov_b64 s[28:29], 0
	v_mov_b32_e32 v5, 0
	v_mov_b32_e32 v6, v15
	s_branch .LBB6_147
.LBB6_146:                              ;   in Loop: Header=BB6_147 Depth=1
	s_or_b64 exec, exec, s[22:23]
	v_add_u32_e32 v3, -4, v3
	s_add_i32 s22, s33, 8
	v_cmp_eq_u32_e32 vcc, 0, v3
	s_add_i32 s33, s34, 2
	v_add_u32_e32 v6, 0xcc0, v6
	v_add_u32_e32 v4, 0xcc0, v4
	s_or_b64 s[28:29], vcc, s[28:29]
	v_mov_b32_e32 v7, s22
	s_andn2_b64 exec, exec, s[28:29]
	s_cbranch_execz .LBB6_163
.LBB6_147:                              ; =>This Inner Loop Header: Depth=1
	s_or_b32 s22, s33, 1
	v_cmp_le_u32_e32 vcc, s22, v1
	v_cmp_le_u32_e64 s[22:23], s33, v1
	s_and_saveexec_b64 s[30:31], s[22:23]
	s_cbranch_execz .LBB6_149
; %bb.148:                              ;   in Loop: Header=BB6_147 Depth=1
	ds_write_b32 v6, v5
.LBB6_149:                              ;   in Loop: Header=BB6_147 Depth=1
	s_or_b64 exec, exec, s[30:31]
	s_and_saveexec_b64 s[22:23], vcc
	s_cbranch_execz .LBB6_151
; %bb.150:                              ;   in Loop: Header=BB6_147 Depth=1
	ds_write_b32 v6, v5 offset:408
.LBB6_151:                              ;   in Loop: Header=BB6_147 Depth=1
	s_or_b64 exec, exec, s[22:23]
	s_add_i32 s34, s33, 2
	s_add_i32 s22, s33, 3
	v_cmp_le_u32_e32 vcc, s22, v1
	v_cmp_le_u32_e64 s[22:23], s34, v1
	s_and_saveexec_b64 s[30:31], s[22:23]
	s_cbranch_execz .LBB6_153
; %bb.152:                              ;   in Loop: Header=BB6_147 Depth=1
	ds_write_b32 v4, v5
.LBB6_153:                              ;   in Loop: Header=BB6_147 Depth=1
	s_or_b64 exec, exec, s[30:31]
	s_and_saveexec_b64 s[22:23], vcc
	s_cbranch_execz .LBB6_155
; %bb.154:                              ;   in Loop: Header=BB6_147 Depth=1
	ds_write_b32 v4, v5 offset:408
.LBB6_155:                              ;   in Loop: Header=BB6_147 Depth=1
	s_or_b64 exec, exec, s[22:23]
	s_add_i32 s35, s34, 2
	s_add_i32 s34, s34, 3
	v_cmp_le_u32_e32 vcc, s34, v1
	v_cmp_le_u32_e64 s[22:23], s35, v1
	s_and_saveexec_b64 s[30:31], s[22:23]
	s_cbranch_execz .LBB6_157
; %bb.156:                              ;   in Loop: Header=BB6_147 Depth=1
	ds_write_b32 v4, v5 offset:816
.LBB6_157:                              ;   in Loop: Header=BB6_147 Depth=1
	s_or_b64 exec, exec, s[30:31]
	s_and_saveexec_b64 s[22:23], vcc
	s_cbranch_execz .LBB6_159
; %bb.158:                              ;   in Loop: Header=BB6_147 Depth=1
	ds_write_b32 v4, v5 offset:1224
.LBB6_159:                              ;   in Loop: Header=BB6_147 Depth=1
	s_or_b64 exec, exec, s[22:23]
	s_add_i32 s34, s35, 2
	s_add_i32 s35, s35, 3
	v_cmp_le_u32_e32 vcc, s35, v1
	v_cmp_le_u32_e64 s[22:23], s34, v1
	s_and_saveexec_b64 s[30:31], s[22:23]
	s_cbranch_execz .LBB6_161
; %bb.160:                              ;   in Loop: Header=BB6_147 Depth=1
	ds_write_b32 v4, v5 offset:1632
.LBB6_161:                              ;   in Loop: Header=BB6_147 Depth=1
	s_or_b64 exec, exec, s[30:31]
	s_and_saveexec_b64 s[22:23], vcc
	s_cbranch_execz .LBB6_146
; %bb.162:                              ;   in Loop: Header=BB6_147 Depth=1
	ds_write_b32 v4, v5 offset:2040
	s_branch .LBB6_146
.LBB6_163:
	s_or_b64 exec, exec, s[28:29]
.LBB6_164:
	s_or_b64 exec, exec, s[26:27]
	v_and_b32_e32 v3, 3, v2
	v_cmp_ne_u32_e32 vcc, 0, v3
	s_and_b64 exec, exec, vcc
	s_cbranch_execz .LBB6_171
; %bb.165:
	s_movk_i32 s22, 0x198
	v_mul_lo_u32 v2, v7, s22
	v_add3_u32 v2, v19, v2, v16
	v_mul_u32_u24_e32 v3, 0x198, v3
	s_mov_b64 s[26:27], 0
	v_mov_b32_e32 v4, 0
	s_branch .LBB6_167
.LBB6_166:                              ;   in Loop: Header=BB6_167 Depth=1
	s_or_b64 exec, exec, s[22:23]
	v_add_u32_e32 v3, 0xfffffe68, v3
	v_cmp_eq_u32_e32 vcc, 0, v3
	v_add_u32_e32 v7, 2, v7
	s_or_b64 s[26:27], vcc, s[26:27]
	v_add_u32_e32 v2, 0x330, v2
	s_andn2_b64 exec, exec, s[26:27]
	s_cbranch_execz .LBB6_171
.LBB6_167:                              ; =>This Inner Loop Header: Depth=1
	v_or_b32_e32 v5, 1, v7
	v_cmp_le_u32_e32 vcc, v5, v1
	v_cmp_le_u32_e64 s[22:23], v7, v1
	s_and_saveexec_b64 s[28:29], s[22:23]
	s_cbranch_execz .LBB6_169
; %bb.168:                              ;   in Loop: Header=BB6_167 Depth=1
	ds_write_b32 v2, v4
.LBB6_169:                              ;   in Loop: Header=BB6_167 Depth=1
	s_or_b64 exec, exec, s[28:29]
	s_and_saveexec_b64 s[22:23], vcc
	s_cbranch_execz .LBB6_166
; %bb.170:                              ;   in Loop: Header=BB6_167 Depth=1
	ds_write_b32 v2, v4 offset:408
	s_branch .LBB6_166
.LBB6_171:
	s_or_b64 exec, exec, s[24:25]
	v_lshrrev_b16_e32 v1, 12, v12
	v_and_b32_e32 v2, 7, v1
	s_movk_i32 s22, 0x66
	v_lshrrev_b32_e32 v1, 2, v1
	v_mad_u32_u24 v2, v2, s22, v0
	v_and_b32_e32 v1, 2, v1
	v_lshl_or_b32 v19, v2, 2, v1
	ds_read_u16 v14, v19
	v_lshrrev_b16_e32 v1, 12, v9
	s_waitcnt lgkmcnt(0)
	v_add_u16_e32 v2, 1, v14
	ds_write_b16 v19, v2
	v_and_b32_e32 v2, 7, v1
	v_lshrrev_b32_e32 v1, 2, v1
	v_mad_u32_u24 v2, v2, s22, v0
	v_and_b32_e32 v1, 2, v1
	v_lshl_or_b32 v22, v2, 2, v1
	ds_read_u16 v20, v22
	s_waitcnt lgkmcnt(0)
	v_add_u16_e32 v1, 1, v20
	ds_write_b16 v22, v1
	v_lshrrev_b16_e32 v1, 12, v8
	v_and_b32_e32 v2, 7, v1
	v_lshrrev_b32_e32 v1, 2, v1
	v_mad_u32_u24 v0, v2, s22, v0
	v_and_b32_e32 v1, 2, v1
	v_lshl_or_b32 v23, v0, 2, v1
	ds_read_u16 v21, v23
	s_waitcnt lgkmcnt(0)
	v_add_u16_e32 v0, 1, v21
	ds_write_b16 v23, v0
	s_waitcnt lgkmcnt(0)
	s_barrier
	ds_read2_b64 v[4:7], v16 offset1:1
	ds_read2_b64 v[0:3], v16 offset0:2 offset1:3
	s_waitcnt lgkmcnt(1)
	v_add_u32_e32 v24, v5, v4
	v_add3_u32 v24, v24, v6, v7
	s_waitcnt lgkmcnt(0)
	v_add3_u32 v24, v24, v0, v1
	v_add3_u32 v3, v24, v2, v3
	s_nop 1
	v_mov_b32_dpp v24, v3 row_shr:1 row_mask:0xf bank_mask:0xf
	v_cndmask_b32_e64 v24, v24, 0, s[20:21]
	v_add_u32_e32 v3, v24, v3
	s_nop 1
	v_mov_b32_dpp v24, v3 row_shr:2 row_mask:0xf bank_mask:0xf
	v_cndmask_b32_e64 v24, 0, v24, s[18:19]
	v_add_u32_e32 v3, v3, v24
	;; [unrolled: 4-line block ×4, first 2 shown]
	s_nop 1
	v_mov_b32_dpp v24, v3 row_bcast:15 row_mask:0xf bank_mask:0xf
	v_cndmask_b32_e64 v24, v24, 0, s[12:13]
	v_add_u32_e32 v3, v3, v24
	s_nop 1
	v_mov_b32_dpp v24, v3 row_bcast:31 row_mask:0xf bank_mask:0xf
	v_cndmask_b32_e64 v24, 0, v24, s[8:9]
	v_add_u32_e32 v3, v3, v24
	s_and_saveexec_b64 s[8:9], s[10:11]
	s_cbranch_execz .LBB6_173
; %bb.172:
	ds_write_b32 v17, v3 offset:3264
.LBB6_173:
	s_or_b64 exec, exec, s[8:9]
	s_waitcnt lgkmcnt(0)
	s_barrier
	s_and_saveexec_b64 s[8:9], s[4:5]
	s_cbranch_execz .LBB6_175
; %bb.174:
	ds_read_b32 v24, v15 offset:3264
	s_waitcnt lgkmcnt(0)
	s_nop 0
	v_mov_b32_dpp v25, v24 row_shr:1 row_mask:0xf bank_mask:0xf
	v_cndmask_b32_e64 v25, v25, 0, s[6:7]
	v_add_u32_e32 v24, v25, v24
	ds_write_b32 v15, v24 offset:3264
.LBB6_175:
	s_or_b64 exec, exec, s[8:9]
	v_mov_b32_e32 v24, 0
	v_mov_b32_e32 v25, 0
	s_waitcnt lgkmcnt(0)
	s_barrier
	s_and_saveexec_b64 s[4:5], s[2:3]
	s_cbranch_execz .LBB6_177
; %bb.176:
	ds_read_b32 v25, v17 offset:3260
.LBB6_177:
	s_or_b64 exec, exec, s[4:5]
	s_waitcnt lgkmcnt(0)
	v_add_u32_e32 v3, v25, v3
	ds_bpermute_b32 v3, v18, v3
	ds_read_b32 v17, v24 offset:3268
	s_waitcnt lgkmcnt(1)
	v_cndmask_b32_e64 v3, v3, v25, s[0:1]
	s_waitcnt lgkmcnt(0)
	v_lshl_add_u32 v24, v17, 16, v3
	v_add_u32_e32 v25, v24, v4
	v_add_u32_e32 v4, v25, v5
	;; [unrolled: 1-line block ×7, first 2 shown]
	ds_write2_b64 v16, v[24:25], v[4:5] offset1:1
	ds_write2_b64 v16, v[6:7], v[0:1] offset0:2 offset1:3
	s_waitcnt lgkmcnt(0)
	s_barrier
	ds_read_u16 v0, v23
	ds_read_u16 v1, v22
	;; [unrolled: 1-line block ×3, first 2 shown]
	v_mov_b32_e32 v3, 1
	v_lshlrev_b32_sdwa v4, v3, v14 dst_sel:DWORD dst_unused:UNUSED_PAD src0_sel:DWORD src1_sel:WORD_0
	s_waitcnt lgkmcnt(0)
	s_barrier
	v_lshl_add_u32 v2, v2, 1, v4
	ds_write_b16 v2, v12
	v_lshlrev_b32_sdwa v2, v3, v20 dst_sel:DWORD dst_unused:UNUSED_PAD src0_sel:DWORD src1_sel:WORD_0
	v_lshl_add_u32 v1, v1, 1, v2
	ds_write_b16 v1, v9
	v_lshlrev_b32_sdwa v1, v3, v21 dst_sel:DWORD dst_unused:UNUSED_PAD src0_sel:DWORD src1_sel:WORD_0
	v_lshl_add_u32 v0, v0, 1, v1
	ds_write_b16 v0, v8
	s_waitcnt lgkmcnt(0)
	s_barrier
.LBB6_178:
	v_add_u32_e32 v0, v15, v13
	ds_read_u16 v1, v0 offset:4
	ds_read_b32 v0, v0
	s_waitcnt lgkmcnt(1)
	v_xor_b32_e32 v1, -1, v1
	s_waitcnt lgkmcnt(0)
	v_xor_b32_e32 v0, -1, v0
	global_store_short v[10:11], v1, off offset:4
	global_store_dword v[10:11], v0, off
	s_endpgm
	.section	.rodata,"a",@progbits
	.p2align	6, 0x0
	.amdhsa_kernel _Z15sort_key_kernelILj102ELj3ELb0ELb1EtEvPT3_jj
		.amdhsa_group_segment_fixed_size 3280
		.amdhsa_private_segment_fixed_size 0
		.amdhsa_kernarg_size 16
		.amdhsa_user_sgpr_count 6
		.amdhsa_user_sgpr_private_segment_buffer 1
		.amdhsa_user_sgpr_dispatch_ptr 0
		.amdhsa_user_sgpr_queue_ptr 0
		.amdhsa_user_sgpr_kernarg_segment_ptr 1
		.amdhsa_user_sgpr_dispatch_id 0
		.amdhsa_user_sgpr_flat_scratch_init 0
		.amdhsa_user_sgpr_kernarg_preload_length 0
		.amdhsa_user_sgpr_kernarg_preload_offset 0
		.amdhsa_user_sgpr_private_segment_size 0
		.amdhsa_uses_dynamic_stack 0
		.amdhsa_system_sgpr_private_segment_wavefront_offset 0
		.amdhsa_system_sgpr_workgroup_id_x 1
		.amdhsa_system_sgpr_workgroup_id_y 0
		.amdhsa_system_sgpr_workgroup_id_z 0
		.amdhsa_system_sgpr_workgroup_info 0
		.amdhsa_system_vgpr_workitem_id 0
		.amdhsa_next_free_vgpr 39
		.amdhsa_next_free_sgpr 45
		.amdhsa_accum_offset 40
		.amdhsa_reserve_vcc 1
		.amdhsa_reserve_flat_scratch 0
		.amdhsa_float_round_mode_32 0
		.amdhsa_float_round_mode_16_64 0
		.amdhsa_float_denorm_mode_32 3
		.amdhsa_float_denorm_mode_16_64 3
		.amdhsa_dx10_clamp 1
		.amdhsa_ieee_mode 1
		.amdhsa_fp16_overflow 0
		.amdhsa_tg_split 0
		.amdhsa_exception_fp_ieee_invalid_op 0
		.amdhsa_exception_fp_denorm_src 0
		.amdhsa_exception_fp_ieee_div_zero 0
		.amdhsa_exception_fp_ieee_overflow 0
		.amdhsa_exception_fp_ieee_underflow 0
		.amdhsa_exception_fp_ieee_inexact 0
		.amdhsa_exception_int_div_zero 0
	.end_amdhsa_kernel
	.section	.text._Z15sort_key_kernelILj102ELj3ELb0ELb1EtEvPT3_jj,"axG",@progbits,_Z15sort_key_kernelILj102ELj3ELb0ELb1EtEvPT3_jj,comdat
.Lfunc_end6:
	.size	_Z15sort_key_kernelILj102ELj3ELb0ELb1EtEvPT3_jj, .Lfunc_end6-_Z15sort_key_kernelILj102ELj3ELb0ELb1EtEvPT3_jj
                                        ; -- End function
	.section	.AMDGPU.csdata,"",@progbits
; Kernel info:
; codeLenInByte = 7172
; NumSgprs: 49
; NumVgprs: 39
; NumAgprs: 0
; TotalNumVgprs: 39
; ScratchSize: 0
; MemoryBound: 0
; FloatMode: 240
; IeeeMode: 1
; LDSByteSize: 3280 bytes/workgroup (compile time only)
; SGPRBlocks: 6
; VGPRBlocks: 4
; NumSGPRsForWavesPerEU: 49
; NumVGPRsForWavesPerEU: 39
; AccumOffset: 40
; Occupancy: 8
; WaveLimiterHint : 0
; COMPUTE_PGM_RSRC2:SCRATCH_EN: 0
; COMPUTE_PGM_RSRC2:USER_SGPR: 6
; COMPUTE_PGM_RSRC2:TRAP_HANDLER: 0
; COMPUTE_PGM_RSRC2:TGID_X_EN: 1
; COMPUTE_PGM_RSRC2:TGID_Y_EN: 0
; COMPUTE_PGM_RSRC2:TGID_Z_EN: 0
; COMPUTE_PGM_RSRC2:TIDIG_COMP_CNT: 0
; COMPUTE_PGM_RSRC3_GFX90A:ACCUM_OFFSET: 9
; COMPUTE_PGM_RSRC3_GFX90A:TG_SPLIT: 0
	.section	.text._Z15sort_key_kernelILj64ELj1ELb0ELb0EyEvPT3_jj,"axG",@progbits,_Z15sort_key_kernelILj64ELj1ELb0ELb0EyEvPT3_jj,comdat
	.protected	_Z15sort_key_kernelILj64ELj1ELb0ELb0EyEvPT3_jj ; -- Begin function _Z15sort_key_kernelILj64ELj1ELb0ELb0EyEvPT3_jj
	.globl	_Z15sort_key_kernelILj64ELj1ELb0ELb0EyEvPT3_jj
	.p2align	8
	.type	_Z15sort_key_kernelILj64ELj1ELb0ELb0EyEvPT3_jj,@function
_Z15sort_key_kernelILj64ELj1ELb0ELb0EyEvPT3_jj: ; @_Z15sort_key_kernelILj64ELj1ELb0ELb0EyEvPT3_jj
; %bb.0:
	s_load_dwordx4 s[16:19], s[4:5], 0x0
	s_load_dword s7, s[4:5], 0x1c
	s_lshl_b32 s0, s6, 6
	s_mov_b32 s1, 0
	s_lshl_b64 s[0:1], s[0:1], 3
	v_and_b32_e32 v6, 0x3ff, v0
	s_waitcnt lgkmcnt(0)
	s_add_u32 s0, s16, s0
	s_addc_u32 s1, s17, s1
	v_lshlrev_b32_e32 v12, 3, v6
	global_load_dwordx2 v[4:5], v12, s[0:1]
	s_cmp_eq_u32 s18, 0
	v_mov_b32_e32 v1, s1
	v_add_co_u32_e32 v2, vcc, s0, v12
	s_cselect_b64 s[0:1], -1, 0
	s_cmp_eq_u32 s19, 64
	s_cselect_b64 s[2:3], -1, 0
	v_addc_co_u32_e32 v3, vcc, 0, v1, vcc
	s_and_b64 s[20:21], s[0:1], s[2:3]
	s_lshr_b32 s0, s7, 16
	v_bfe_u32 v1, v0, 10, 10
	v_bfe_u32 v0, v0, 20, 10
	s_and_b32 s1, s7, 0xffff
	v_mad_u32_u24 v0, v0, s0, v1
	v_mad_u64_u32 v[0:1], s[0:1], v0, s1, v[6:7]
	v_lshrrev_b32_e32 v15, 6, v0
	v_mbcnt_lo_u32_b32 v0, -1, 0
	v_mbcnt_hi_u32_b32 v0, -1, v0
	v_and_b32_e32 v1, 15, v0
	v_cmp_eq_u32_e64 s[0:1], 0, v1
	v_cmp_lt_u32_e64 s[2:3], 1, v1
	v_cmp_lt_u32_e64 s[4:5], 3, v1
	;; [unrolled: 1-line block ×3, first 2 shown]
	v_and_b32_e32 v1, 16, v0
	v_cmp_eq_u32_e64 s[8:9], 0, v1
	v_add_u32_e32 v1, -1, v0
	v_and_b32_e32 v7, 64, v0
	v_cmp_lt_i32_e32 vcc, v1, v7
	v_lshlrev_b32_e32 v13, 4, v6
	v_cndmask_b32_e32 v1, v1, v0, vcc
	v_cmp_eq_u32_e32 vcc, 0, v0
	v_cmp_eq_u32_e64 s[14:15], 0, v6
	v_or_b32_e32 v14, 4, v13
	v_cmp_lt_u32_e64 s[10:11], 31, v0
	v_cmp_eq_u32_e64 s[12:13], 63, v6
	v_lshlrev_b32_e32 v16, 2, v1
	s_or_b64 s[16:17], s[14:15], vcc
	v_lshlrev_b32_e32 v17, 3, v0
	s_mov_b64 s[14:15], -1
	s_and_b64 vcc, exec, s[20:21]
	s_cbranch_vccz .LBB7_3
; %bb.1:
	s_and_b64 vcc, exec, s[14:15]
	s_cbranch_vccnz .LBB7_12
.LBB7_2:
	s_waitcnt lgkmcnt(0)
	ds_read_b64 v[0:1], v12
	s_waitcnt lgkmcnt(0)
	global_store_dwordx2 v[2:3], v[0:1], off
	s_endpgm
.LBB7_3:
	s_sub_i32 s20, s19, s18
	v_mov_b32_e32 v0, 0
	s_waitcnt vmcnt(0)
	v_pk_mov_b32 v[8:9], v[4:5], v[4:5] op_sel:[0,1]
	s_branch .LBB7_5
.LBB7_4:                                ;   in Loop: Header=BB7_5 Depth=1
	; wave barrier
	ds_write_b64 v1, v[6:7]
	s_waitcnt lgkmcnt(0)
	; wave barrier
	s_waitcnt lgkmcnt(0)
	ds_read_b64 v[8:9], v17
	s_add_i32 s20, s20, -8
	s_waitcnt lgkmcnt(0)
	; wave barrier
	s_waitcnt lgkmcnt(0)
	s_cbranch_execz .LBB7_11
.LBB7_5:                                ; =>This Inner Loop Header: Depth=1
	v_pk_mov_b32 v[6:7], v[8:9], v[8:9] op_sel:[0,1]
	s_min_u32 s14, s20, 8
	v_lshrrev_b64 v[8:9], s18, v[6:7]
	v_bfe_u32 v8, v8, 0, s14
	v_add_u32_e32 v1, v8, v15
	v_lshl_add_u32 v18, v1, 2, 4
	v_and_b32_e32 v1, 1, v8
	v_add_co_u32_e32 v9, vcc, -1, v1
	v_addc_co_u32_e64 v10, s[14:15], 0, -1, vcc
	v_cmp_ne_u32_e32 vcc, 0, v1
	v_xor_b32_e32 v1, vcc_hi, v10
	v_and_b32_e32 v10, exec_hi, v1
	v_lshlrev_b32_e32 v1, 30, v8
	v_xor_b32_e32 v9, vcc_lo, v9
	v_cmp_gt_i64_e32 vcc, 0, v[0:1]
	v_not_b32_e32 v1, v1
	v_ashrrev_i32_e32 v1, 31, v1
	v_and_b32_e32 v9, exec_lo, v9
	v_xor_b32_e32 v11, vcc_hi, v1
	v_xor_b32_e32 v1, vcc_lo, v1
	v_and_b32_e32 v9, v9, v1
	v_lshlrev_b32_e32 v1, 29, v8
	v_cmp_gt_i64_e32 vcc, 0, v[0:1]
	v_not_b32_e32 v1, v1
	v_ashrrev_i32_e32 v1, 31, v1
	v_and_b32_e32 v10, v10, v11
	v_xor_b32_e32 v11, vcc_hi, v1
	v_xor_b32_e32 v1, vcc_lo, v1
	v_and_b32_e32 v9, v9, v1
	v_lshlrev_b32_e32 v1, 28, v8
	v_cmp_gt_i64_e32 vcc, 0, v[0:1]
	v_not_b32_e32 v1, v1
	v_ashrrev_i32_e32 v1, 31, v1
	v_and_b32_e32 v10, v10, v11
	;; [unrolled: 8-line block ×5, first 2 shown]
	v_xor_b32_e32 v11, vcc_hi, v1
	v_xor_b32_e32 v1, vcc_lo, v1
	v_and_b32_e32 v10, v10, v11
	v_and_b32_e32 v11, v9, v1
	v_lshlrev_b32_e32 v1, 24, v8
	v_cmp_gt_i64_e32 vcc, 0, v[0:1]
	v_not_b32_e32 v1, v1
	v_ashrrev_i32_e32 v1, 31, v1
	v_xor_b32_e32 v8, vcc_hi, v1
	v_xor_b32_e32 v1, vcc_lo, v1
	v_and_b32_e32 v9, v10, v8
	v_and_b32_e32 v8, v11, v1
	v_mbcnt_lo_u32_b32 v1, v8, 0
	v_mbcnt_hi_u32_b32 v1, v9, v1
	v_cmp_eq_u32_e32 vcc, 0, v1
	v_cmp_ne_u64_e64 s[14:15], 0, v[8:9]
	s_and_b64 s[22:23], s[14:15], vcc
	ds_write2_b32 v13, v0, v0 offset0:1 offset1:2
	ds_write2_b32 v14, v0, v0 offset0:2 offset1:3
	s_waitcnt lgkmcnt(0)
	; wave barrier
	s_waitcnt lgkmcnt(0)
	; wave barrier
	s_and_saveexec_b64 s[14:15], s[22:23]
	s_cbranch_execz .LBB7_7
; %bb.6:                                ;   in Loop: Header=BB7_5 Depth=1
	v_bcnt_u32_b32 v8, v8, 0
	v_bcnt_u32_b32 v8, v9, v8
	ds_write_b32 v18, v8
.LBB7_7:                                ;   in Loop: Header=BB7_5 Depth=1
	s_or_b64 exec, exec, s[14:15]
	; wave barrier
	s_waitcnt lgkmcnt(0)
	; wave barrier
	s_waitcnt lgkmcnt(0)
	ds_read2_b32 v[10:11], v13 offset0:1 offset1:2
	ds_read2_b32 v[8:9], v14 offset0:2 offset1:3
	s_waitcnt lgkmcnt(1)
	v_add_u32_e32 v19, v11, v10
	s_waitcnt lgkmcnt(0)
	v_add3_u32 v9, v19, v8, v9
	s_nop 1
	v_mov_b32_dpp v19, v9 row_shr:1 row_mask:0xf bank_mask:0xf
	v_cndmask_b32_e64 v19, v19, 0, s[0:1]
	v_add_u32_e32 v9, v19, v9
	s_nop 1
	v_mov_b32_dpp v19, v9 row_shr:2 row_mask:0xf bank_mask:0xf
	v_cndmask_b32_e64 v19, 0, v19, s[2:3]
	v_add_u32_e32 v9, v9, v19
	;; [unrolled: 4-line block ×4, first 2 shown]
	s_nop 1
	v_mov_b32_dpp v19, v9 row_bcast:15 row_mask:0xf bank_mask:0xf
	v_cndmask_b32_e64 v19, v19, 0, s[8:9]
	v_add_u32_e32 v9, v9, v19
	s_nop 1
	v_mov_b32_dpp v19, v9 row_bcast:31 row_mask:0xf bank_mask:0xf
	v_cndmask_b32_e64 v19, 0, v19, s[10:11]
	v_add_u32_e32 v9, v9, v19
	s_and_saveexec_b64 s[14:15], s[12:13]
	s_cbranch_execz .LBB7_9
; %bb.8:                                ;   in Loop: Header=BB7_5 Depth=1
	ds_write_b32 v0, v9
.LBB7_9:                                ;   in Loop: Header=BB7_5 Depth=1
	s_or_b64 exec, exec, s[14:15]
	ds_bpermute_b32 v9, v16, v9
	s_waitcnt lgkmcnt(0)
	; wave barrier
	s_waitcnt lgkmcnt(0)
	s_add_i32 s18, s18, 8
	v_lshlrev_b32_e32 v1, 3, v1
	v_cndmask_b32_e64 v9, v9, 0, s[16:17]
	v_add_u32_e32 v10, v9, v10
	v_add_u32_e32 v11, v10, v11
	;; [unrolled: 1-line block ×3, first 2 shown]
	ds_write2_b32 v13, v9, v10 offset0:1 offset1:2
	ds_write2_b32 v14, v11, v8 offset0:2 offset1:3
	s_waitcnt lgkmcnt(0)
	; wave barrier
	s_waitcnt lgkmcnt(0)
	ds_read_b32 v8, v18
	s_cmp_ge_u32 s18, s19
	s_waitcnt lgkmcnt(0)
	v_lshl_add_u32 v1, v8, 3, v1
	s_cbranch_scc0 .LBB7_4
; %bb.10:
                                        ; implicit-def: $vgpr8_vgpr9
                                        ; implicit-def: $sgpr20
.LBB7_11:
	; wave barrier
	ds_write_b64 v1, v[6:7]
	s_waitcnt lgkmcnt(0)
	; wave barrier
	s_branch .LBB7_2
.LBB7_12:
	s_mov_b64 s[18:19], 0
	v_mov_b32_e32 v0, 0
	s_branch .LBB7_14
.LBB7_13:                               ;   in Loop: Header=BB7_14 Depth=1
	v_lshlrev_b32_e32 v4, 3, v1
	s_waitcnt lgkmcnt(0)
	; wave barrier
	ds_write_b64 v4, v[6:7]
	s_waitcnt lgkmcnt(0)
	; wave barrier
	s_waitcnt lgkmcnt(0)
	ds_read_b64 v[4:5], v17
	s_add_u32 s18, s18, 8
	s_addc_u32 s19, s19, 0
	s_waitcnt lgkmcnt(0)
	; wave barrier
	s_waitcnt lgkmcnt(0)
	s_cbranch_execz .LBB7_20
.LBB7_14:                               ; =>This Inner Loop Header: Depth=1
	s_waitcnt vmcnt(0)
	v_pk_mov_b32 v[6:7], v[4:5], v[4:5] op_sel:[0,1]
	v_lshrrev_b64 v[4:5], s18, v[6:7]
	v_add_u32_sdwa v1, v4, v15 dst_sel:DWORD dst_unused:UNUSED_PAD src0_sel:BYTE_0 src1_sel:DWORD
	v_lshl_add_u32 v10, v1, 2, 4
	v_and_b32_e32 v1, 1, v4
	v_add_co_u32_e32 v5, vcc, -1, v1
	v_addc_co_u32_e64 v8, s[14:15], 0, -1, vcc
	v_cmp_ne_u32_e32 vcc, 0, v1
	v_xor_b32_e32 v1, vcc_hi, v8
	v_and_b32_e32 v8, exec_hi, v1
	v_lshlrev_b32_e32 v1, 30, v4
	v_xor_b32_e32 v5, vcc_lo, v5
	v_cmp_gt_i64_e32 vcc, 0, v[0:1]
	v_not_b32_e32 v1, v1
	v_ashrrev_i32_e32 v1, 31, v1
	v_and_b32_e32 v5, exec_lo, v5
	v_xor_b32_e32 v9, vcc_hi, v1
	v_xor_b32_e32 v1, vcc_lo, v1
	v_and_b32_e32 v5, v5, v1
	v_lshlrev_b32_e32 v1, 29, v4
	v_cmp_gt_i64_e32 vcc, 0, v[0:1]
	v_not_b32_e32 v1, v1
	v_ashrrev_i32_e32 v1, 31, v1
	v_and_b32_e32 v8, v8, v9
	v_xor_b32_e32 v9, vcc_hi, v1
	v_xor_b32_e32 v1, vcc_lo, v1
	v_and_b32_e32 v5, v5, v1
	v_lshlrev_b32_e32 v1, 28, v4
	v_cmp_gt_i64_e32 vcc, 0, v[0:1]
	v_not_b32_e32 v1, v1
	v_ashrrev_i32_e32 v1, 31, v1
	v_and_b32_e32 v8, v8, v9
	;; [unrolled: 8-line block ×5, first 2 shown]
	v_xor_b32_e32 v9, vcc_hi, v1
	v_xor_b32_e32 v1, vcc_lo, v1
	v_and_b32_e32 v8, v8, v9
	v_and_b32_e32 v9, v5, v1
	v_lshlrev_b32_e32 v1, 24, v4
	v_cmp_gt_i64_e32 vcc, 0, v[0:1]
	v_not_b32_e32 v1, v1
	v_ashrrev_i32_e32 v1, 31, v1
	v_xor_b32_e32 v4, vcc_hi, v1
	v_xor_b32_e32 v1, vcc_lo, v1
	v_and_b32_e32 v5, v8, v4
	v_and_b32_e32 v4, v9, v1
	v_mbcnt_lo_u32_b32 v1, v4, 0
	v_mbcnt_hi_u32_b32 v1, v5, v1
	v_cmp_eq_u32_e32 vcc, 0, v1
	v_cmp_ne_u64_e64 s[14:15], 0, v[4:5]
	s_and_b64 s[20:21], s[14:15], vcc
	ds_write2_b32 v13, v0, v0 offset0:1 offset1:2
	ds_write2_b32 v14, v0, v0 offset0:2 offset1:3
	s_waitcnt lgkmcnt(0)
	; wave barrier
	s_waitcnt lgkmcnt(0)
	; wave barrier
	s_and_saveexec_b64 s[14:15], s[20:21]
	s_cbranch_execz .LBB7_16
; %bb.15:                               ;   in Loop: Header=BB7_14 Depth=1
	v_bcnt_u32_b32 v4, v4, 0
	v_bcnt_u32_b32 v4, v5, v4
	ds_write_b32 v10, v4
.LBB7_16:                               ;   in Loop: Header=BB7_14 Depth=1
	s_or_b64 exec, exec, s[14:15]
	; wave barrier
	s_waitcnt lgkmcnt(0)
	; wave barrier
	s_waitcnt lgkmcnt(0)
	ds_read2_b32 v[8:9], v13 offset0:1 offset1:2
	ds_read2_b32 v[4:5], v14 offset0:2 offset1:3
	s_waitcnt lgkmcnt(1)
	v_add_u32_e32 v11, v9, v8
	s_waitcnt lgkmcnt(0)
	v_add3_u32 v5, v11, v4, v5
	s_nop 1
	v_mov_b32_dpp v11, v5 row_shr:1 row_mask:0xf bank_mask:0xf
	v_cndmask_b32_e64 v11, v11, 0, s[0:1]
	v_add_u32_e32 v5, v11, v5
	s_nop 1
	v_mov_b32_dpp v11, v5 row_shr:2 row_mask:0xf bank_mask:0xf
	v_cndmask_b32_e64 v11, 0, v11, s[2:3]
	v_add_u32_e32 v5, v5, v11
	;; [unrolled: 4-line block ×4, first 2 shown]
	s_nop 1
	v_mov_b32_dpp v11, v5 row_bcast:15 row_mask:0xf bank_mask:0xf
	v_cndmask_b32_e64 v11, v11, 0, s[8:9]
	v_add_u32_e32 v5, v5, v11
	s_nop 1
	v_mov_b32_dpp v11, v5 row_bcast:31 row_mask:0xf bank_mask:0xf
	v_cndmask_b32_e64 v11, 0, v11, s[10:11]
	v_add_u32_e32 v5, v5, v11
	s_and_saveexec_b64 s[14:15], s[12:13]
	s_cbranch_execz .LBB7_18
; %bb.17:                               ;   in Loop: Header=BB7_14 Depth=1
	ds_write_b32 v0, v5
.LBB7_18:                               ;   in Loop: Header=BB7_14 Depth=1
	s_or_b64 exec, exec, s[14:15]
	ds_bpermute_b32 v5, v16, v5
	s_waitcnt lgkmcnt(0)
	; wave barrier
	s_waitcnt lgkmcnt(0)
	s_cmp_gt_u32 s18, 55
	v_cndmask_b32_e64 v5, v5, 0, s[16:17]
	v_add_u32_e32 v8, v5, v8
	v_add_u32_e32 v9, v8, v9
	;; [unrolled: 1-line block ×3, first 2 shown]
	ds_write2_b32 v13, v5, v8 offset0:1 offset1:2
	ds_write2_b32 v14, v9, v4 offset0:2 offset1:3
	s_waitcnt lgkmcnt(0)
	; wave barrier
	s_waitcnt lgkmcnt(0)
	ds_read_b32 v4, v10
	s_waitcnt lgkmcnt(0)
	v_add_u32_e32 v1, v4, v1
	s_cbranch_scc0 .LBB7_13
; %bb.19:
                                        ; implicit-def: $vgpr4_vgpr5
                                        ; implicit-def: $sgpr18_sgpr19
.LBB7_20:
	v_lshlrev_b32_e32 v0, 3, v1
	s_waitcnt lgkmcnt(0)
	; wave barrier
	ds_write_b64 v0, v[6:7]
	s_waitcnt lgkmcnt(0)
	; wave barrier
	s_waitcnt lgkmcnt(0)
	ds_read_b64 v[0:1], v12
	s_waitcnt lgkmcnt(0)
	global_store_dwordx2 v[2:3], v[0:1], off
	s_endpgm
	.section	.rodata,"a",@progbits
	.p2align	6, 0x0
	.amdhsa_kernel _Z15sort_key_kernelILj64ELj1ELb0ELb0EyEvPT3_jj
		.amdhsa_group_segment_fixed_size 1040
		.amdhsa_private_segment_fixed_size 0
		.amdhsa_kernarg_size 272
		.amdhsa_user_sgpr_count 6
		.amdhsa_user_sgpr_private_segment_buffer 1
		.amdhsa_user_sgpr_dispatch_ptr 0
		.amdhsa_user_sgpr_queue_ptr 0
		.amdhsa_user_sgpr_kernarg_segment_ptr 1
		.amdhsa_user_sgpr_dispatch_id 0
		.amdhsa_user_sgpr_flat_scratch_init 0
		.amdhsa_user_sgpr_kernarg_preload_length 0
		.amdhsa_user_sgpr_kernarg_preload_offset 0
		.amdhsa_user_sgpr_private_segment_size 0
		.amdhsa_uses_dynamic_stack 0
		.amdhsa_system_sgpr_private_segment_wavefront_offset 0
		.amdhsa_system_sgpr_workgroup_id_x 1
		.amdhsa_system_sgpr_workgroup_id_y 0
		.amdhsa_system_sgpr_workgroup_id_z 0
		.amdhsa_system_sgpr_workgroup_info 0
		.amdhsa_system_vgpr_workitem_id 2
		.amdhsa_next_free_vgpr 20
		.amdhsa_next_free_sgpr 24
		.amdhsa_accum_offset 20
		.amdhsa_reserve_vcc 1
		.amdhsa_reserve_flat_scratch 0
		.amdhsa_float_round_mode_32 0
		.amdhsa_float_round_mode_16_64 0
		.amdhsa_float_denorm_mode_32 3
		.amdhsa_float_denorm_mode_16_64 3
		.amdhsa_dx10_clamp 1
		.amdhsa_ieee_mode 1
		.amdhsa_fp16_overflow 0
		.amdhsa_tg_split 0
		.amdhsa_exception_fp_ieee_invalid_op 0
		.amdhsa_exception_fp_denorm_src 0
		.amdhsa_exception_fp_ieee_div_zero 0
		.amdhsa_exception_fp_ieee_overflow 0
		.amdhsa_exception_fp_ieee_underflow 0
		.amdhsa_exception_fp_ieee_inexact 0
		.amdhsa_exception_int_div_zero 0
	.end_amdhsa_kernel
	.section	.text._Z15sort_key_kernelILj64ELj1ELb0ELb0EyEvPT3_jj,"axG",@progbits,_Z15sort_key_kernelILj64ELj1ELb0ELb0EyEvPT3_jj,comdat
.Lfunc_end7:
	.size	_Z15sort_key_kernelILj64ELj1ELb0ELb0EyEvPT3_jj, .Lfunc_end7-_Z15sort_key_kernelILj64ELj1ELb0ELb0EyEvPT3_jj
                                        ; -- End function
	.section	.AMDGPU.csdata,"",@progbits
; Kernel info:
; codeLenInByte = 1884
; NumSgprs: 28
; NumVgprs: 20
; NumAgprs: 0
; TotalNumVgprs: 20
; ScratchSize: 0
; MemoryBound: 0
; FloatMode: 240
; IeeeMode: 1
; LDSByteSize: 1040 bytes/workgroup (compile time only)
; SGPRBlocks: 3
; VGPRBlocks: 2
; NumSGPRsForWavesPerEU: 28
; NumVGPRsForWavesPerEU: 20
; AccumOffset: 20
; Occupancy: 8
; WaveLimiterHint : 0
; COMPUTE_PGM_RSRC2:SCRATCH_EN: 0
; COMPUTE_PGM_RSRC2:USER_SGPR: 6
; COMPUTE_PGM_RSRC2:TRAP_HANDLER: 0
; COMPUTE_PGM_RSRC2:TGID_X_EN: 1
; COMPUTE_PGM_RSRC2:TGID_Y_EN: 0
; COMPUTE_PGM_RSRC2:TGID_Z_EN: 0
; COMPUTE_PGM_RSRC2:TIDIG_COMP_CNT: 2
; COMPUTE_PGM_RSRC3_GFX90A:ACCUM_OFFSET: 4
; COMPUTE_PGM_RSRC3_GFX90A:TG_SPLIT: 0
	.section	.text._Z15sort_key_kernelILj234ELj9ELb0ELb0EsEvPT3_jj,"axG",@progbits,_Z15sort_key_kernelILj234ELj9ELb0ELb0EsEvPT3_jj,comdat
	.protected	_Z15sort_key_kernelILj234ELj9ELb0ELb0EsEvPT3_jj ; -- Begin function _Z15sort_key_kernelILj234ELj9ELb0ELb0EsEvPT3_jj
	.globl	_Z15sort_key_kernelILj234ELj9ELb0ELb0EsEvPT3_jj
	.p2align	8
	.type	_Z15sort_key_kernelILj234ELj9ELb0ELb0EsEvPT3_jj,@function
_Z15sort_key_kernelILj234ELj9ELb0ELb0EsEvPT3_jj: ; @_Z15sort_key_kernelILj234ELj9ELb0ELb0EsEvPT3_jj
; %bb.0:
	s_load_dwordx4 s[24:27], s[4:5], 0x0
	s_mul_i32 s0, s6, 0x83a
	s_mov_b32 s1, 0
	s_lshl_b64 s[0:1], s[0:1], 1
	v_mul_u32_u24_e32 v1, 9, v0
	s_waitcnt lgkmcnt(0)
	s_add_u32 s28, s24, s0
	s_addc_u32 s29, s25, s1
	v_lshlrev_b32_e32 v1, 1, v1
	global_load_dwordx4 v[2:5], v1, s[28:29]
	global_load_ushort v6, v1, s[28:29] offset:16
	v_mbcnt_lo_u32_b32 v7, -1, 0
	v_mbcnt_hi_u32_b32 v7, -1, v7
	v_add_u32_e32 v12, -1, v7
	v_and_b32_e32 v13, 64, v7
	v_lshrrev_b32_e32 v9, 4, v0
	v_cmp_lt_i32_e32 vcc, v12, v13
	v_and_b32_e32 v10, 15, v7
	v_and_b32_e32 v11, 16, v7
	v_cmp_lt_u32_e64 s[10:11], 31, v7
	v_cmp_eq_u32_e64 s[0:1], 0, v7
	v_and_b32_e32 v20, 12, v9
	v_and_b32_e32 v9, 3, v7
	v_cndmask_b32_e32 v7, v12, v7, vcc
	s_cmp_lg_u32 s26, 0
	v_and_b32_e32 v8, 0xc0, v0
	v_lshlrev_b32_e32 v21, 2, v7
	v_mov_b32_e32 v7, s29
	v_add_co_u32_e32 v14, vcc, s28, v1
	s_cselect_b64 s[28:29], -1, 0
	s_cmp_lg_u32 s27, 16
	v_min_u32_e32 v8, 0xaa, v8
	s_cselect_b64 s[30:31], -1, 0
	s_movk_i32 s6, 0xffe4
	v_lshlrev_b32_e32 v19, 5, v0
	v_add_u32_e32 v8, 63, v8
	v_addc_co_u32_e32 v15, vcc, 0, v7, vcc
	s_or_b64 s[28:29], s[28:29], s[30:31]
	s_mov_b64 s[24:25], -1
	v_cmp_gt_u32_e64 s[4:5], 4, v0
	v_cmp_lt_u32_e64 s[2:3], 63, v0
	v_mul_u32_u24_e32 v17, 14, v0
	v_mad_i32_i24 v18, v0, s6, v19
	v_cmp_eq_u32_e64 s[22:23], 0, v10
	v_cmp_lt_u32_e64 s[20:21], 1, v10
	v_cmp_lt_u32_e64 s[18:19], 3, v10
	;; [unrolled: 1-line block ×3, first 2 shown]
	v_cmp_eq_u32_e64 s[12:13], 0, v11
	v_cmp_eq_u32_e64 s[8:9], 0, v9
	v_cmp_lt_u32_e64 s[6:7], 1, v9
	v_cmp_eq_u32_e64 s[14:15], v8, v0
	s_and_b64 vcc, exec, s[28:29]
	s_waitcnt vmcnt(1)
	v_xor_b32_e32 v24, 0x80008000, v2
	v_xor_b32_e32 v23, 0x80008000, v3
	;; [unrolled: 1-line block ×4, first 2 shown]
	s_waitcnt vmcnt(0)
	v_xor_b32_e32 v11, 0xffff8000, v6
	s_cbranch_vccz .LBB8_18
; %bb.1:
	v_sub_u32_e32 v1, 0x665, v0
	s_mov_b32 s24, 0x1181182
	v_mul_hi_u32 v1, v1, s24
	v_add_u32_e32 v2, 3, v1
	v_add_u32_e32 v10, 1, v1
	v_and_b32_e32 v16, 30, v2
	v_mov_b32_e32 v1, v10
	v_mov_b32_e32 v25, 0
	;; [unrolled: 1-line block ×8, first 2 shown]
	s_branch .LBB8_3
.LBB8_2:                                ;   in Loop: Header=BB8_3 Depth=1
	v_add_u32_e32 v40, v18, v17
	s_barrier
	ds_write_b16 v6, v30
	ds_write_b16 v7, v31
	;; [unrolled: 1-line block ×9, first 2 shown]
	s_waitcnt lgkmcnt(0)
	s_barrier
	ds_read_b128 v[2:5], v40
	ds_read_u16 v40, v40 offset:16
	s_waitcnt lgkmcnt(0)
	s_barrier
	s_cbranch_execz .LBB8_17
.LBB8_3:                                ; =>This Loop Header: Depth=1
                                        ;     Child Loop BB8_5 Depth 2
	v_mov_b32_e32 v22, v40
	v_mov_b32_e32 v27, v5
	v_mov_b32_e32 v28, v4
	v_mov_b32_e32 v29, v3
	v_mov_b32_e32 v30, v2
	s_mov_b64 s[28:29], 0
	v_mov_b32_e32 v2, v18
	s_mov_b32 s33, 0
	s_branch .LBB8_5
.LBB8_4:                                ;   in Loop: Header=BB8_5 Depth=2
	s_or_b64 exec, exec, s[24:25]
	s_add_i32 s33, s33, 2
	v_cmp_eq_u32_e32 vcc, s33, v16
	s_or_b64 s[28:29], vcc, s[28:29]
	v_add_u32_e32 v2, 0x750, v2
	s_andn2_b64 exec, exec, s[28:29]
	s_cbranch_execz .LBB8_9
.LBB8_5:                                ;   Parent Loop BB8_3 Depth=1
                                        ; =>  This Inner Loop Header: Depth=2
	s_or_b32 s24, s33, 1
	v_cmp_le_u32_e32 vcc, s24, v1
	v_cmp_le_u32_e64 s[24:25], s33, v10
	s_and_saveexec_b64 s[30:31], s[24:25]
	s_cbranch_execz .LBB8_7
; %bb.6:                                ;   in Loop: Header=BB8_5 Depth=2
	ds_write_b32 v2, v25
.LBB8_7:                                ;   in Loop: Header=BB8_5 Depth=2
	s_or_b64 exec, exec, s[30:31]
	s_and_saveexec_b64 s[24:25], vcc
	s_cbranch_execz .LBB8_4
; %bb.8:                                ;   in Loop: Header=BB8_5 Depth=2
	ds_write_b32 v2, v25 offset:936
	s_branch .LBB8_4
.LBB8_9:                                ;   in Loop: Header=BB8_3 Depth=1
	s_or_b64 exec, exec, s[28:29]
	s_sub_i32 s24, s27, s26
	s_min_u32 s24, s24, 4
	s_lshl_b32 s24, -1, s24
	s_not_b32 s24, s24
	v_lshrrev_b32_sdwa v2, s26, v30 dst_sel:DWORD dst_unused:UNUSED_PAD src0_sel:DWORD src1_sel:WORD_0
	v_and_b32_e32 v2, s24, v2
	v_and_b32_e32 v3, 7, v2
	v_mul_u32_u24_e32 v3, 0xea, v3
	v_lshrrev_b32_e32 v2, 3, v2
	v_add_lshl_u32 v3, v3, v0, 1
	v_add_lshl_u32 v36, v3, v2, 1
	ds_read_u16 v35, v36
	v_lshrrev_b32_e32 v31, 16, v30
	v_lshrrev_b32_e32 v2, s26, v31
	v_and_b32_e32 v2, s24, v2
	v_lshrrev_b32_e32 v32, 16, v29
	s_waitcnt lgkmcnt(0)
	v_add_u16_e32 v3, 1, v35
	ds_write_b16 v36, v3
	v_and_b32_e32 v3, 7, v2
	v_mul_u32_u24_e32 v3, 0xea, v3
	v_lshrrev_b32_e32 v2, 3, v2
	v_add_lshl_u32 v3, v3, v0, 1
	v_add_lshl_u32 v39, v3, v2, 1
	ds_read_u16 v37, v39
	v_lshrrev_b32_e32 v33, 16, v28
	v_lshrrev_b32_e32 v34, 16, v27
	s_waitcnt lgkmcnt(0)
	v_add_u16_e32 v2, 1, v37
	ds_write_b16 v39, v2
	v_lshrrev_b32_sdwa v2, s26, v29 dst_sel:DWORD dst_unused:UNUSED_PAD src0_sel:DWORD src1_sel:WORD_0
	v_and_b32_e32 v2, s24, v2
	v_and_b32_e32 v3, 7, v2
	v_mul_u32_u24_e32 v3, 0xea, v3
	v_lshrrev_b32_e32 v2, 3, v2
	v_add_lshl_u32 v3, v3, v0, 1
	v_add_lshl_u32 v41, v3, v2, 1
	ds_read_u16 v38, v41
	s_waitcnt lgkmcnt(0)
	v_add_u16_e32 v2, 1, v38
	ds_write_b16 v41, v2
	v_lshrrev_b32_e32 v2, s26, v32
	v_and_b32_e32 v2, s24, v2
	v_and_b32_e32 v3, 7, v2
	v_mul_u32_u24_e32 v3, 0xea, v3
	v_lshrrev_b32_e32 v2, 3, v2
	v_add_lshl_u32 v3, v3, v0, 1
	v_add_lshl_u32 v43, v3, v2, 1
	ds_read_u16 v40, v43
	s_waitcnt lgkmcnt(0)
	v_add_u16_e32 v2, 1, v40
	ds_write_b16 v43, v2
	v_lshrrev_b32_sdwa v2, s26, v28 dst_sel:DWORD dst_unused:UNUSED_PAD src0_sel:DWORD src1_sel:WORD_0
	v_and_b32_e32 v2, s24, v2
	v_and_b32_e32 v3, 7, v2
	v_mul_u32_u24_e32 v3, 0xea, v3
	v_lshrrev_b32_e32 v2, 3, v2
	v_add_lshl_u32 v3, v3, v0, 1
	v_add_lshl_u32 v45, v3, v2, 1
	ds_read_u16 v42, v45
	s_waitcnt lgkmcnt(0)
	v_add_u16_e32 v2, 1, v42
	ds_write_b16 v45, v2
	v_lshrrev_b32_e32 v2, s26, v33
	v_and_b32_e32 v2, s24, v2
	v_and_b32_e32 v3, 7, v2
	v_mul_u32_u24_e32 v3, 0xea, v3
	v_lshrrev_b32_e32 v2, 3, v2
	v_add_lshl_u32 v3, v3, v0, 1
	v_add_lshl_u32 v47, v3, v2, 1
	ds_read_u16 v44, v47
	s_waitcnt lgkmcnt(0)
	v_add_u16_e32 v2, 1, v44
	ds_write_b16 v47, v2
	v_lshrrev_b32_sdwa v2, s26, v27 dst_sel:DWORD dst_unused:UNUSED_PAD src0_sel:DWORD src1_sel:WORD_0
	v_and_b32_e32 v2, s24, v2
	v_and_b32_e32 v3, 7, v2
	v_mul_u32_u24_e32 v3, 0xea, v3
	v_lshrrev_b32_e32 v2, 3, v2
	v_add_lshl_u32 v3, v3, v0, 1
	v_add_lshl_u32 v49, v3, v2, 1
	ds_read_u16 v46, v49
	s_waitcnt lgkmcnt(0)
	v_add_u16_e32 v2, 1, v46
	ds_write_b16 v49, v2
	v_lshrrev_b32_e32 v2, s26, v34
	v_and_b32_e32 v2, s24, v2
	v_and_b32_e32 v3, 7, v2
	v_mul_u32_u24_e32 v3, 0xea, v3
	v_lshrrev_b32_e32 v2, 3, v2
	v_add_lshl_u32 v3, v3, v0, 1
	v_add_lshl_u32 v51, v3, v2, 1
	ds_read_u16 v48, v51
	s_waitcnt lgkmcnt(0)
	v_add_u16_e32 v2, 1, v48
	ds_write_b16 v51, v2
	v_lshrrev_b32_sdwa v2, s26, v22 dst_sel:DWORD dst_unused:UNUSED_PAD src0_sel:DWORD src1_sel:WORD_0
	v_and_b32_e32 v2, s24, v2
	v_and_b32_e32 v3, 7, v2
	v_mul_u32_u24_e32 v3, 0xea, v3
	v_lshrrev_b32_e32 v2, 3, v2
	v_add_lshl_u32 v3, v3, v0, 1
	v_add_lshl_u32 v52, v3, v2, 1
	ds_read_u16 v50, v52
	s_waitcnt lgkmcnt(0)
	v_add_u16_e32 v2, 1, v50
	ds_write_b16 v52, v2
	s_waitcnt lgkmcnt(0)
	s_barrier
	ds_read2_b64 v[6:9], v19 offset1:1
	ds_read2_b64 v[2:5], v19 offset0:2 offset1:3
	s_waitcnt lgkmcnt(1)
	v_add_u32_e32 v53, v7, v6
	v_add3_u32 v53, v53, v8, v9
	s_waitcnt lgkmcnt(0)
	v_add3_u32 v53, v53, v2, v3
	v_add3_u32 v5, v53, v4, v5
	s_nop 1
	v_mov_b32_dpp v53, v5 row_shr:1 row_mask:0xf bank_mask:0xf
	v_cndmask_b32_e64 v53, v53, 0, s[22:23]
	v_add_u32_e32 v5, v53, v5
	s_nop 1
	v_mov_b32_dpp v53, v5 row_shr:2 row_mask:0xf bank_mask:0xf
	v_cndmask_b32_e64 v53, 0, v53, s[20:21]
	v_add_u32_e32 v5, v5, v53
	;; [unrolled: 4-line block ×4, first 2 shown]
	s_nop 1
	v_mov_b32_dpp v53, v5 row_bcast:15 row_mask:0xf bank_mask:0xf
	v_cndmask_b32_e64 v53, v53, 0, s[12:13]
	v_add_u32_e32 v5, v5, v53
	s_nop 1
	v_mov_b32_dpp v53, v5 row_bcast:31 row_mask:0xf bank_mask:0xf
	v_cndmask_b32_e64 v53, 0, v53, s[10:11]
	v_add_u32_e32 v5, v5, v53
	s_and_saveexec_b64 s[24:25], s[14:15]
	s_cbranch_execz .LBB8_11
; %bb.10:                               ;   in Loop: Header=BB8_3 Depth=1
	ds_write_b32 v20, v5 offset:7488
.LBB8_11:                               ;   in Loop: Header=BB8_3 Depth=1
	s_or_b64 exec, exec, s[24:25]
	s_waitcnt lgkmcnt(0)
	s_barrier
	s_and_saveexec_b64 s[24:25], s[4:5]
	s_cbranch_execz .LBB8_13
; %bb.12:                               ;   in Loop: Header=BB8_3 Depth=1
	ds_read_b32 v53, v18 offset:7488
	s_waitcnt lgkmcnt(0)
	s_nop 0
	v_mov_b32_dpp v54, v53 row_shr:1 row_mask:0xf bank_mask:0xf
	v_cndmask_b32_e64 v54, v54, 0, s[8:9]
	v_add_u32_e32 v53, v54, v53
	s_nop 1
	v_mov_b32_dpp v54, v53 row_shr:2 row_mask:0xf bank_mask:0xf
	v_cndmask_b32_e64 v54, 0, v54, s[6:7]
	v_add_u32_e32 v53, v53, v54
	ds_write_b32 v18, v53 offset:7488
.LBB8_13:                               ;   in Loop: Header=BB8_3 Depth=1
	s_or_b64 exec, exec, s[24:25]
	v_mov_b32_e32 v53, 0
	s_waitcnt lgkmcnt(0)
	s_barrier
	s_and_saveexec_b64 s[24:25], s[2:3]
	s_cbranch_execz .LBB8_15
; %bb.14:                               ;   in Loop: Header=BB8_3 Depth=1
	ds_read_b32 v53, v20 offset:7484
.LBB8_15:                               ;   in Loop: Header=BB8_3 Depth=1
	s_or_b64 exec, exec, s[24:25]
	s_waitcnt lgkmcnt(0)
	v_add_u32_e32 v5, v53, v5
	ds_bpermute_b32 v5, v21, v5
	ds_read_b32 v54, v25 offset:7500
	s_add_i32 s26, s26, 4
	s_cmp_ge_u32 s26, s27
	s_waitcnt lgkmcnt(1)
	v_cndmask_b32_e64 v5, v5, v53, s[0:1]
	s_waitcnt lgkmcnt(0)
	v_lshl_add_u32 v54, v54, 16, v5
	v_add_u32_e32 v55, v54, v6
	v_add_u32_e32 v6, v55, v7
	;; [unrolled: 1-line block ×7, first 2 shown]
	ds_write2_b64 v19, v[54:55], v[6:7] offset1:1
	ds_write2_b64 v19, v[8:9], v[2:3] offset0:2 offset1:3
	s_waitcnt lgkmcnt(0)
	s_barrier
	ds_read_u16 v2, v36
	ds_read_u16 v3, v39
	;; [unrolled: 1-line block ×9, first 2 shown]
	v_lshlrev_b32_sdwa v6, v26, v35 dst_sel:DWORD dst_unused:UNUSED_PAD src0_sel:DWORD src1_sel:WORD_0
	s_waitcnt lgkmcnt(8)
	v_lshl_add_u32 v6, v2, 1, v6
	v_lshlrev_b32_sdwa v2, v26, v37 dst_sel:DWORD dst_unused:UNUSED_PAD src0_sel:DWORD src1_sel:WORD_0
	s_waitcnt lgkmcnt(7)
	v_lshl_add_u32 v7, v3, 1, v2
	;; [unrolled: 3-line block ×9, first 2 shown]
	s_cbranch_scc0 .LBB8_2
; %bb.16:
                                        ; implicit-def: $vgpr40
                                        ; implicit-def: $vgpr5
.LBB8_17:
	s_mov_b64 s[24:25], 0
	s_barrier
	ds_write_b16 v6, v30
	ds_write_b16 v7, v31
	;; [unrolled: 1-line block ×9, first 2 shown]
	s_waitcnt lgkmcnt(0)
	s_barrier
.LBB8_18:
	s_and_b64 vcc, exec, s[24:25]
	s_cbranch_vccz .LBB8_68
; %bb.19:
	v_sub_u32_e32 v1, 0x665, v0
	s_mov_b32 s24, 0x1181182
	v_mul_hi_u32 v1, v1, s24
	v_add_u32_e32 v2, 3, v1
	v_add_u32_e32 v16, 1, v1
	v_and_b32_e32 v22, 30, v2
	v_mov_b32_e32 v1, v16
	s_mov_b32 s30, 0
	s_mov_b64 s[26:27], 0
	v_mov_b32_e32 v2, 0
	v_mov_b32_e32 v3, v18
	s_branch .LBB8_21
.LBB8_20:                               ;   in Loop: Header=BB8_21 Depth=1
	s_or_b64 exec, exec, s[24:25]
	s_add_i32 s30, s30, 2
	v_cmp_eq_u32_e32 vcc, s30, v22
	s_or_b64 s[26:27], vcc, s[26:27]
	v_add_u32_e32 v3, 0x750, v3
	s_andn2_b64 exec, exec, s[26:27]
	s_cbranch_execz .LBB8_25
.LBB8_21:                               ; =>This Inner Loop Header: Depth=1
	s_or_b32 s24, s30, 1
	v_cmp_le_u32_e32 vcc, s24, v1
	v_cmp_le_u32_e64 s[24:25], s30, v16
	s_and_saveexec_b64 s[28:29], s[24:25]
	s_cbranch_execz .LBB8_23
; %bb.22:                               ;   in Loop: Header=BB8_21 Depth=1
	ds_write_b32 v3, v2
.LBB8_23:                               ;   in Loop: Header=BB8_21 Depth=1
	s_or_b64 exec, exec, s[28:29]
	s_and_saveexec_b64 s[24:25], vcc
	s_cbranch_execz .LBB8_20
; %bb.24:                               ;   in Loop: Header=BB8_21 Depth=1
	ds_write_b32 v3, v2 offset:936
	s_branch .LBB8_20
.LBB8_25:
	s_or_b64 exec, exec, s[26:27]
	v_and_b32_e32 v2, 7, v24
	s_movk_i32 s24, 0xea
	v_lshrrev_b32_e32 v3, 2, v24
	v_mad_u32_u24 v2, v2, s24, v0
	v_and_b32_e32 v3, 2, v3
	v_lshl_or_b32 v26, v2, 2, v3
	ds_read_u16 v10, v26
	v_bfe_u32 v2, v24, 16, 3
	v_mad_u32_u24 v2, v2, s24, v0
	s_waitcnt lgkmcnt(0)
	v_add_u16_e32 v3, 1, v10
	ds_write_b16 v26, v3
	v_lshrrev_b32_e32 v3, 18, v24
	v_and_b32_e32 v3, 2, v3
	v_lshl_or_b32 v29, v2, 2, v3
	ds_read_u16 v25, v29
	v_lshrrev_b32_e32 v3, 2, v23
	v_and_b32_e32 v3, 2, v3
	s_waitcnt lgkmcnt(0)
	v_add_u16_e32 v2, 1, v25
	ds_write_b16 v29, v2
	v_and_b32_e32 v2, 7, v23
	v_mad_u32_u24 v2, v2, s24, v0
	v_lshl_or_b32 v32, v2, 2, v3
	ds_read_u16 v27, v32
	v_lshrrev_b32_e32 v3, 18, v23
	v_and_b32_e32 v3, 2, v3
	s_waitcnt lgkmcnt(0)
	v_add_u16_e32 v2, 1, v27
	ds_write_b16 v32, v2
	v_bfe_u32 v2, v23, 16, 3
	v_mad_u32_u24 v2, v2, s24, v0
	v_lshl_or_b32 v34, v2, 2, v3
	ds_read_u16 v28, v34
	v_lshrrev_b32_e32 v3, 2, v13
	v_and_b32_e32 v3, 2, v3
	s_waitcnt lgkmcnt(0)
	v_add_u16_e32 v2, 1, v28
	ds_write_b16 v34, v2
	v_and_b32_e32 v2, 7, v13
	v_mad_u32_u24 v2, v2, s24, v0
	v_lshl_or_b32 v36, v2, 2, v3
	ds_read_u16 v30, v36
	v_lshrrev_b32_e32 v3, 18, v13
	v_and_b32_e32 v3, 2, v3
	s_waitcnt lgkmcnt(0)
	v_add_u16_e32 v2, 1, v30
	ds_write_b16 v36, v2
	v_bfe_u32 v2, v13, 16, 3
	v_mad_u32_u24 v2, v2, s24, v0
	;; [unrolled: 18-line block ×3, first 2 shown]
	v_lshl_or_b32 v41, v2, 2, v3
	ds_read_u16 v35, v41
	v_mov_b32_e32 v3, 2
	v_lshrrev_b32_sdwa v3, v3, v11 dst_sel:DWORD dst_unused:UNUSED_PAD src0_sel:DWORD src1_sel:WORD_0
	v_and_b32_e32 v3, 2, v3
	s_waitcnt lgkmcnt(0)
	v_add_u16_e32 v2, 1, v35
	ds_write_b16 v41, v2
	v_mov_b32_e32 v2, 7
	v_and_b32_sdwa v2, v11, v2 dst_sel:DWORD dst_unused:UNUSED_PAD src0_sel:WORD_0 src1_sel:DWORD
	v_mad_u32_u24 v2, v2, s24, v0
	v_lshl_or_b32 v42, v2, 2, v3
	ds_read_u16 v37, v42
	s_waitcnt lgkmcnt(0)
	v_add_u16_e32 v2, 1, v37
	ds_write_b16 v42, v2
	s_waitcnt lgkmcnt(0)
	s_barrier
	ds_read2_b64 v[6:9], v19 offset1:1
	ds_read2_b64 v[2:5], v19 offset0:2 offset1:3
	s_waitcnt lgkmcnt(1)
	v_add_u32_e32 v40, v7, v6
	v_add3_u32 v40, v40, v8, v9
	s_waitcnt lgkmcnt(0)
	v_add3_u32 v40, v40, v2, v3
	v_add3_u32 v5, v40, v4, v5
	s_nop 1
	v_mov_b32_dpp v40, v5 row_shr:1 row_mask:0xf bank_mask:0xf
	v_cndmask_b32_e64 v40, v40, 0, s[22:23]
	v_add_u32_e32 v5, v40, v5
	s_nop 1
	v_mov_b32_dpp v40, v5 row_shr:2 row_mask:0xf bank_mask:0xf
	v_cndmask_b32_e64 v40, 0, v40, s[20:21]
	v_add_u32_e32 v5, v5, v40
	;; [unrolled: 4-line block ×4, first 2 shown]
	s_nop 1
	v_mov_b32_dpp v40, v5 row_bcast:15 row_mask:0xf bank_mask:0xf
	v_cndmask_b32_e64 v40, v40, 0, s[12:13]
	v_add_u32_e32 v5, v5, v40
	s_nop 1
	v_mov_b32_dpp v40, v5 row_bcast:31 row_mask:0xf bank_mask:0xf
	v_cndmask_b32_e64 v40, 0, v40, s[10:11]
	v_add_u32_e32 v46, v5, v40
	s_and_saveexec_b64 s[24:25], s[14:15]
	s_cbranch_execz .LBB8_27
; %bb.26:
	ds_write_b32 v20, v46 offset:7488
.LBB8_27:
	s_or_b64 exec, exec, s[24:25]
	s_waitcnt lgkmcnt(0)
	s_barrier
	s_and_saveexec_b64 s[24:25], s[4:5]
	s_cbranch_execz .LBB8_29
; %bb.28:
	ds_read_b32 v5, v18 offset:7488
	s_waitcnt lgkmcnt(0)
	s_nop 0
	v_mov_b32_dpp v40, v5 row_shr:1 row_mask:0xf bank_mask:0xf
	v_cndmask_b32_e64 v40, v40, 0, s[8:9]
	v_add_u32_e32 v5, v40, v5
	s_nop 1
	v_mov_b32_dpp v40, v5 row_shr:2 row_mask:0xf bank_mask:0xf
	v_cndmask_b32_e64 v40, 0, v40, s[6:7]
	v_add_u32_e32 v5, v5, v40
	ds_write_b32 v18, v5 offset:7488
.LBB8_29:
	s_or_b64 exec, exec, s[24:25]
	v_lshrrev_b32_e32 v45, 16, v24
	v_lshrrev_b32_e32 v44, 16, v23
	;; [unrolled: 1-line block ×4, first 2 shown]
	v_mov_b32_e32 v40, 0
	v_mov_b32_e32 v47, 0
	s_waitcnt lgkmcnt(0)
	s_barrier
	s_and_saveexec_b64 s[24:25], s[2:3]
	s_cbranch_execz .LBB8_31
; %bb.30:
	ds_read_b32 v47, v20 offset:7484
.LBB8_31:
	s_or_b64 exec, exec, s[24:25]
	s_waitcnt lgkmcnt(0)
	v_add_u32_e32 v46, v47, v46
	ds_bpermute_b32 v46, v21, v46
	ds_read_b32 v48, v40 offset:7500
	s_mov_b32 s30, 0
	s_mov_b64 s[26:27], 0
	s_waitcnt lgkmcnt(1)
	v_cndmask_b32_e64 v46, v46, v47, s[0:1]
	s_waitcnt lgkmcnt(0)
	v_lshl_add_u32 v46, v48, 16, v46
	v_add_u32_e32 v47, v46, v6
	v_add_u32_e32 v6, v47, v7
	;; [unrolled: 1-line block ×7, first 2 shown]
	ds_write2_b64 v19, v[46:47], v[6:7] offset1:1
	ds_write2_b64 v19, v[8:9], v[2:3] offset0:2 offset1:3
	s_waitcnt lgkmcnt(0)
	s_barrier
	ds_read_u16 v2, v26
	ds_read_u16 v3, v29
	;; [unrolled: 1-line block ×9, first 2 shown]
	v_mov_b32_e32 v32, 1
	v_lshlrev_b32_sdwa v10, v32, v10 dst_sel:DWORD dst_unused:UNUSED_PAD src0_sel:DWORD src1_sel:WORD_0
	s_waitcnt lgkmcnt(8)
	v_lshl_add_u32 v2, v2, 1, v10
	s_waitcnt lgkmcnt(0)
	s_barrier
	ds_write_b16 v2, v24
	v_lshlrev_b32_sdwa v2, v32, v25 dst_sel:DWORD dst_unused:UNUSED_PAD src0_sel:DWORD src1_sel:WORD_0
	v_lshl_add_u32 v2, v3, 1, v2
	ds_write_b16 v2, v45
	v_lshlrev_b32_sdwa v2, v32, v27 dst_sel:DWORD dst_unused:UNUSED_PAD src0_sel:DWORD src1_sel:WORD_0
	v_lshl_add_u32 v2, v4, 1, v2
	;; [unrolled: 3-line block ×8, first 2 shown]
	v_add_u32_e32 v23, v18, v17
	ds_write_b16 v2, v11
	s_waitcnt lgkmcnt(0)
	s_barrier
	ds_read_b128 v[2:5], v23
	ds_read_u16 v24, v23 offset:16
	v_mov_b32_e32 v6, v18
	s_waitcnt lgkmcnt(0)
	s_barrier
	s_branch .LBB8_33
.LBB8_32:                               ;   in Loop: Header=BB8_33 Depth=1
	s_or_b64 exec, exec, s[24:25]
	s_add_i32 s30, s30, 2
	v_cmp_eq_u32_e32 vcc, s30, v22
	s_or_b64 s[26:27], vcc, s[26:27]
	v_add_u32_e32 v6, 0x750, v6
	s_andn2_b64 exec, exec, s[26:27]
	s_cbranch_execz .LBB8_37
.LBB8_33:                               ; =>This Inner Loop Header: Depth=1
	s_or_b32 s24, s30, 1
	v_cmp_le_u32_e32 vcc, s24, v1
	v_cmp_le_u32_e64 s[24:25], s30, v16
	s_and_saveexec_b64 s[28:29], s[24:25]
	s_cbranch_execz .LBB8_35
; %bb.34:                               ;   in Loop: Header=BB8_33 Depth=1
	ds_write_b32 v6, v40
.LBB8_35:                               ;   in Loop: Header=BB8_33 Depth=1
	s_or_b64 exec, exec, s[28:29]
	s_and_saveexec_b64 s[24:25], vcc
	s_cbranch_execz .LBB8_32
; %bb.36:                               ;   in Loop: Header=BB8_33 Depth=1
	ds_write_b32 v6, v40 offset:936
	s_branch .LBB8_32
.LBB8_37:
	s_or_b64 exec, exec, s[26:27]
	v_lshrrev_b16_e32 v6, 4, v2
	v_and_b32_e32 v7, 7, v6
	s_movk_i32 s24, 0xea
	v_lshrrev_b32_e32 v6, 2, v6
	v_mad_u32_u24 v7, v7, s24, v0
	v_and_b32_e32 v6, 2, v6
	v_lshl_or_b32 v27, v7, 2, v6
	ds_read_u16 v25, v27
	v_bfe_u32 v6, v2, 20, 3
	v_mad_u32_u24 v6, v6, s24, v0
	s_waitcnt lgkmcnt(0)
	v_add_u16_e32 v7, 1, v25
	ds_write_b16 v27, v7
	v_lshrrev_b32_e32 v7, 22, v2
	v_and_b32_e32 v7, 2, v7
	v_lshl_or_b32 v30, v6, 2, v7
	ds_read_u16 v26, v30
	s_waitcnt lgkmcnt(0)
	v_add_u16_e32 v6, 1, v26
	ds_write_b16 v30, v6
	v_lshrrev_b16_e32 v6, 4, v3
	v_and_b32_e32 v7, 7, v6
	v_lshrrev_b32_e32 v6, 2, v6
	v_mad_u32_u24 v7, v7, s24, v0
	v_and_b32_e32 v6, 2, v6
	v_lshl_or_b32 v32, v7, 2, v6
	ds_read_u16 v28, v32
	v_lshrrev_b32_e32 v7, 22, v3
	v_and_b32_e32 v7, 2, v7
	s_waitcnt lgkmcnt(0)
	v_add_u16_e32 v6, 1, v28
	ds_write_b16 v32, v6
	v_bfe_u32 v6, v3, 20, 3
	v_mad_u32_u24 v6, v6, s24, v0
	v_lshl_or_b32 v35, v6, 2, v7
	ds_read_u16 v29, v35
	s_waitcnt lgkmcnt(0)
	v_add_u16_e32 v6, 1, v29
	ds_write_b16 v35, v6
	v_lshrrev_b16_e32 v6, 4, v4
	v_and_b32_e32 v7, 7, v6
	v_lshrrev_b32_e32 v6, 2, v6
	v_mad_u32_u24 v7, v7, s24, v0
	v_and_b32_e32 v6, 2, v6
	v_lshl_or_b32 v37, v7, 2, v6
	ds_read_u16 v31, v37
	v_lshrrev_b32_e32 v7, 22, v4
	v_and_b32_e32 v7, 2, v7
	s_waitcnt lgkmcnt(0)
	v_add_u16_e32 v6, 1, v31
	ds_write_b16 v37, v6
	v_bfe_u32 v6, v4, 20, 3
	v_mad_u32_u24 v6, v6, s24, v0
	;; [unrolled: 19-line block ×3, first 2 shown]
	v_lshl_or_b32 v41, v6, 2, v7
	ds_read_u16 v36, v41
	s_waitcnt lgkmcnt(0)
	v_add_u16_e32 v6, 1, v36
	ds_write_b16 v41, v6
	v_lshrrev_b16_e32 v6, 4, v24
	v_and_b32_e32 v7, 7, v6
	v_lshrrev_b32_e32 v6, 2, v6
	v_mad_u32_u24 v7, v7, s24, v0
	v_and_b32_e32 v6, 2, v6
	v_lshl_or_b32 v42, v7, 2, v6
	ds_read_u16 v38, v42
	s_waitcnt lgkmcnt(0)
	v_add_u16_e32 v6, 1, v38
	ds_write_b16 v42, v6
	s_waitcnt lgkmcnt(0)
	s_barrier
	ds_read2_b64 v[10:13], v19 offset1:1
	ds_read2_b64 v[6:9], v19 offset0:2 offset1:3
	s_waitcnt lgkmcnt(1)
	v_add_u32_e32 v43, v11, v10
	v_add3_u32 v43, v43, v12, v13
	s_waitcnt lgkmcnt(0)
	v_add3_u32 v43, v43, v6, v7
	v_add3_u32 v9, v43, v8, v9
	s_nop 1
	v_mov_b32_dpp v43, v9 row_shr:1 row_mask:0xf bank_mask:0xf
	v_cndmask_b32_e64 v43, v43, 0, s[22:23]
	v_add_u32_e32 v9, v43, v9
	s_nop 1
	v_mov_b32_dpp v43, v9 row_shr:2 row_mask:0xf bank_mask:0xf
	v_cndmask_b32_e64 v43, 0, v43, s[20:21]
	v_add_u32_e32 v9, v9, v43
	;; [unrolled: 4-line block ×4, first 2 shown]
	s_nop 1
	v_mov_b32_dpp v43, v9 row_bcast:15 row_mask:0xf bank_mask:0xf
	v_cndmask_b32_e64 v43, v43, 0, s[12:13]
	v_add_u32_e32 v9, v9, v43
	s_nop 1
	v_mov_b32_dpp v43, v9 row_bcast:31 row_mask:0xf bank_mask:0xf
	v_cndmask_b32_e64 v43, 0, v43, s[10:11]
	v_add_u32_e32 v47, v9, v43
	s_and_saveexec_b64 s[24:25], s[14:15]
	s_cbranch_execz .LBB8_39
; %bb.38:
	ds_write_b32 v20, v47 offset:7488
.LBB8_39:
	s_or_b64 exec, exec, s[24:25]
	s_waitcnt lgkmcnt(0)
	s_barrier
	s_and_saveexec_b64 s[24:25], s[4:5]
	s_cbranch_execz .LBB8_41
; %bb.40:
	ds_read_b32 v9, v18 offset:7488
	s_waitcnt lgkmcnt(0)
	s_nop 0
	v_mov_b32_dpp v43, v9 row_shr:1 row_mask:0xf bank_mask:0xf
	v_cndmask_b32_e64 v43, v43, 0, s[8:9]
	v_add_u32_e32 v9, v43, v9
	s_nop 1
	v_mov_b32_dpp v43, v9 row_shr:2 row_mask:0xf bank_mask:0xf
	v_cndmask_b32_e64 v43, 0, v43, s[6:7]
	v_add_u32_e32 v9, v9, v43
	ds_write_b32 v18, v9 offset:7488
.LBB8_41:
	s_or_b64 exec, exec, s[24:25]
	v_lshrrev_b32_e32 v46, 16, v2
	v_lshrrev_b32_e32 v45, 16, v3
	;; [unrolled: 1-line block ×4, first 2 shown]
	v_mov_b32_e32 v9, 0
	v_mov_b32_e32 v48, 0
	s_waitcnt lgkmcnt(0)
	s_barrier
	s_and_saveexec_b64 s[24:25], s[2:3]
	s_cbranch_execz .LBB8_43
; %bb.42:
	ds_read_b32 v48, v20 offset:7484
.LBB8_43:
	s_or_b64 exec, exec, s[24:25]
	s_waitcnt lgkmcnt(0)
	v_add_u32_e32 v47, v48, v47
	ds_bpermute_b32 v47, v21, v47
	ds_read_b32 v49, v9 offset:7500
	s_mov_b32 s30, 0
	s_mov_b64 s[26:27], 0
	s_waitcnt lgkmcnt(1)
	v_cndmask_b32_e64 v47, v47, v48, s[0:1]
	s_waitcnt lgkmcnt(0)
	v_lshl_add_u32 v48, v49, 16, v47
	v_add_u32_e32 v49, v48, v10
	v_add_u32_e32 v10, v49, v11
	;; [unrolled: 1-line block ×7, first 2 shown]
	ds_write2_b64 v19, v[48:49], v[10:11] offset1:1
	ds_write2_b64 v19, v[12:13], v[6:7] offset0:2 offset1:3
	s_waitcnt lgkmcnt(0)
	s_barrier
	ds_read_u16 v6, v27
	ds_read_u16 v7, v30
	ds_read_u16 v8, v32
	ds_read_u16 v10, v35
	ds_read_u16 v11, v37
	ds_read_u16 v12, v39
	ds_read_u16 v13, v40
	ds_read_u16 v27, v41
	ds_read_u16 v30, v42
	v_mov_b32_e32 v32, 1
	v_lshlrev_b32_sdwa v25, v32, v25 dst_sel:DWORD dst_unused:UNUSED_PAD src0_sel:DWORD src1_sel:WORD_0
	s_waitcnt lgkmcnt(8)
	v_lshl_add_u32 v6, v6, 1, v25
	s_waitcnt lgkmcnt(0)
	s_barrier
	ds_write_b16 v6, v2
	v_lshlrev_b32_sdwa v2, v32, v26 dst_sel:DWORD dst_unused:UNUSED_PAD src0_sel:DWORD src1_sel:WORD_0
	v_lshl_add_u32 v2, v7, 1, v2
	ds_write_b16 v2, v46
	v_lshlrev_b32_sdwa v2, v32, v28 dst_sel:DWORD dst_unused:UNUSED_PAD src0_sel:DWORD src1_sel:WORD_0
	v_lshl_add_u32 v2, v8, 1, v2
	ds_write_b16 v2, v3
	v_lshlrev_b32_sdwa v2, v32, v29 dst_sel:DWORD dst_unused:UNUSED_PAD src0_sel:DWORD src1_sel:WORD_0
	v_lshl_add_u32 v2, v10, 1, v2
	ds_write_b16 v2, v45
	v_lshlrev_b32_sdwa v2, v32, v31 dst_sel:DWORD dst_unused:UNUSED_PAD src0_sel:DWORD src1_sel:WORD_0
	v_lshl_add_u32 v2, v11, 1, v2
	ds_write_b16 v2, v4
	v_lshlrev_b32_sdwa v2, v32, v33 dst_sel:DWORD dst_unused:UNUSED_PAD src0_sel:DWORD src1_sel:WORD_0
	v_lshl_add_u32 v2, v12, 1, v2
	ds_write_b16 v2, v44
	v_lshlrev_b32_sdwa v2, v32, v34 dst_sel:DWORD dst_unused:UNUSED_PAD src0_sel:DWORD src1_sel:WORD_0
	v_lshl_add_u32 v2, v13, 1, v2
	ds_write_b16 v2, v5
	v_lshlrev_b32_sdwa v2, v32, v36 dst_sel:DWORD dst_unused:UNUSED_PAD src0_sel:DWORD src1_sel:WORD_0
	v_lshl_add_u32 v2, v27, 1, v2
	ds_write_b16 v2, v43
	v_lshlrev_b32_sdwa v2, v32, v38 dst_sel:DWORD dst_unused:UNUSED_PAD src0_sel:DWORD src1_sel:WORD_0
	v_lshl_add_u32 v2, v30, 1, v2
	ds_write_b16 v2, v24
	s_waitcnt lgkmcnt(0)
	s_barrier
	ds_read_b128 v[2:5], v23
	ds_read_u16 v24, v23 offset:16
	v_mov_b32_e32 v6, v18
	s_waitcnt lgkmcnt(0)
	s_barrier
	s_branch .LBB8_45
.LBB8_44:                               ;   in Loop: Header=BB8_45 Depth=1
	s_or_b64 exec, exec, s[24:25]
	s_add_i32 s30, s30, 2
	v_cmp_eq_u32_e32 vcc, s30, v22
	s_or_b64 s[26:27], vcc, s[26:27]
	v_add_u32_e32 v6, 0x750, v6
	s_andn2_b64 exec, exec, s[26:27]
	s_cbranch_execz .LBB8_49
.LBB8_45:                               ; =>This Inner Loop Header: Depth=1
	s_or_b32 s24, s30, 1
	v_cmp_le_u32_e32 vcc, s24, v1
	v_cmp_le_u32_e64 s[24:25], s30, v16
	s_and_saveexec_b64 s[28:29], s[24:25]
	s_cbranch_execz .LBB8_47
; %bb.46:                               ;   in Loop: Header=BB8_45 Depth=1
	ds_write_b32 v6, v9
.LBB8_47:                               ;   in Loop: Header=BB8_45 Depth=1
	s_or_b64 exec, exec, s[28:29]
	s_and_saveexec_b64 s[24:25], vcc
	s_cbranch_execz .LBB8_44
; %bb.48:                               ;   in Loop: Header=BB8_45 Depth=1
	ds_write_b32 v6, v9 offset:936
	s_branch .LBB8_44
.LBB8_49:
	s_or_b64 exec, exec, s[26:27]
	v_mov_b32_e32 v6, 7
	v_mov_b32_e32 v8, 2
	v_and_b32_sdwa v7, v2, v6 dst_sel:DWORD dst_unused:UNUSED_PAD src0_sel:BYTE_1 src1_sel:DWORD
	s_movk_i32 s24, 0xea
	v_lshrrev_b32_sdwa v9, v8, v2 dst_sel:DWORD dst_unused:UNUSED_PAD src0_sel:DWORD src1_sel:BYTE_1
	v_mad_u32_u24 v7, v7, s24, v0
	v_and_b32_e32 v9, 2, v9
	v_lshl_or_b32 v28, v7, 2, v9
	ds_read_u16 v25, v28
	v_lshrrev_b32_e32 v9, 26, v2
	v_and_b32_e32 v9, 2, v9
	s_waitcnt lgkmcnt(0)
	v_add_u16_e32 v7, 1, v25
	ds_write_b16 v28, v7
	v_bfe_u32 v7, v2, 24, 3
	v_mad_u32_u24 v7, v7, s24, v0
	v_lshl_or_b32 v30, v7, 2, v9
	ds_read_u16 v26, v30
	v_lshrrev_b32_sdwa v9, v8, v3 dst_sel:DWORD dst_unused:UNUSED_PAD src0_sel:DWORD src1_sel:BYTE_1
	v_and_b32_e32 v9, 2, v9
	s_waitcnt lgkmcnt(0)
	v_add_u16_e32 v7, 1, v26
	ds_write_b16 v30, v7
	v_and_b32_sdwa v7, v3, v6 dst_sel:DWORD dst_unused:UNUSED_PAD src0_sel:BYTE_1 src1_sel:DWORD
	v_mad_u32_u24 v7, v7, s24, v0
	v_lshl_or_b32 v33, v7, 2, v9
	ds_read_u16 v27, v33
	v_lshrrev_b32_e32 v9, 26, v3
	v_and_b32_e32 v9, 2, v9
	s_waitcnt lgkmcnt(0)
	v_add_u16_e32 v7, 1, v27
	ds_write_b16 v33, v7
	v_bfe_u32 v7, v3, 24, 3
	v_mad_u32_u24 v7, v7, s24, v0
	v_lshl_or_b32 v35, v7, 2, v9
	ds_read_u16 v29, v35
	v_lshrrev_b32_sdwa v9, v8, v4 dst_sel:DWORD dst_unused:UNUSED_PAD src0_sel:DWORD src1_sel:BYTE_1
	v_and_b32_e32 v9, 2, v9
	s_waitcnt lgkmcnt(0)
	v_add_u16_e32 v7, 1, v29
	ds_write_b16 v35, v7
	v_and_b32_sdwa v7, v4, v6 dst_sel:DWORD dst_unused:UNUSED_PAD src0_sel:BYTE_1 src1_sel:DWORD
	v_mad_u32_u24 v7, v7, s24, v0
	;; [unrolled: 18-line block ×3, first 2 shown]
	v_lshl_or_b32 v40, v7, 2, v9
	ds_read_u16 v34, v40
	v_lshrrev_b32_e32 v9, 26, v5
	v_and_b32_e32 v9, 2, v9
	v_and_b32_sdwa v6, v24, v6 dst_sel:DWORD dst_unused:UNUSED_PAD src0_sel:BYTE_1 src1_sel:DWORD
	v_mad_u32_u24 v6, v6, s24, v0
	s_waitcnt lgkmcnt(0)
	v_add_u16_e32 v7, 1, v34
	ds_write_b16 v40, v7
	v_bfe_u32 v7, v5, 24, 3
	v_mad_u32_u24 v7, v7, s24, v0
	v_lshl_or_b32 v41, v7, 2, v9
	ds_read_u16 v36, v41
	s_waitcnt lgkmcnt(0)
	v_add_u16_e32 v7, 1, v36
	ds_write_b16 v41, v7
	v_lshrrev_b32_sdwa v7, v8, v24 dst_sel:DWORD dst_unused:UNUSED_PAD src0_sel:DWORD src1_sel:BYTE_1
	v_and_b32_e32 v7, 2, v7
	v_lshl_or_b32 v42, v6, 2, v7
	ds_read_u16 v38, v42
	s_waitcnt lgkmcnt(0)
	v_add_u16_e32 v6, 1, v38
	ds_write_b16 v42, v6
	s_waitcnt lgkmcnt(0)
	s_barrier
	ds_read2_b64 v[10:13], v19 offset1:1
	ds_read2_b64 v[6:9], v19 offset0:2 offset1:3
	s_waitcnt lgkmcnt(1)
	v_add_u32_e32 v43, v11, v10
	v_add3_u32 v43, v43, v12, v13
	s_waitcnt lgkmcnt(0)
	v_add3_u32 v43, v43, v6, v7
	v_add3_u32 v9, v43, v8, v9
	s_nop 1
	v_mov_b32_dpp v43, v9 row_shr:1 row_mask:0xf bank_mask:0xf
	v_cndmask_b32_e64 v43, v43, 0, s[22:23]
	v_add_u32_e32 v9, v43, v9
	s_nop 1
	v_mov_b32_dpp v43, v9 row_shr:2 row_mask:0xf bank_mask:0xf
	v_cndmask_b32_e64 v43, 0, v43, s[20:21]
	v_add_u32_e32 v9, v9, v43
	;; [unrolled: 4-line block ×4, first 2 shown]
	s_nop 1
	v_mov_b32_dpp v43, v9 row_bcast:15 row_mask:0xf bank_mask:0xf
	v_cndmask_b32_e64 v43, v43, 0, s[12:13]
	v_add_u32_e32 v9, v9, v43
	s_nop 1
	v_mov_b32_dpp v43, v9 row_bcast:31 row_mask:0xf bank_mask:0xf
	v_cndmask_b32_e64 v43, 0, v43, s[10:11]
	v_add_u32_e32 v47, v9, v43
	s_and_saveexec_b64 s[24:25], s[14:15]
	s_cbranch_execz .LBB8_51
; %bb.50:
	ds_write_b32 v20, v47 offset:7488
.LBB8_51:
	s_or_b64 exec, exec, s[24:25]
	s_waitcnt lgkmcnt(0)
	s_barrier
	s_and_saveexec_b64 s[24:25], s[4:5]
	s_cbranch_execz .LBB8_53
; %bb.52:
	ds_read_b32 v9, v18 offset:7488
	s_waitcnt lgkmcnt(0)
	s_nop 0
	v_mov_b32_dpp v43, v9 row_shr:1 row_mask:0xf bank_mask:0xf
	v_cndmask_b32_e64 v43, v43, 0, s[8:9]
	v_add_u32_e32 v9, v43, v9
	s_nop 1
	v_mov_b32_dpp v43, v9 row_shr:2 row_mask:0xf bank_mask:0xf
	v_cndmask_b32_e64 v43, 0, v43, s[6:7]
	v_add_u32_e32 v9, v9, v43
	ds_write_b32 v18, v9 offset:7488
.LBB8_53:
	s_or_b64 exec, exec, s[24:25]
	v_lshrrev_b32_e32 v46, 16, v2
	v_lshrrev_b32_e32 v45, 16, v3
	;; [unrolled: 1-line block ×4, first 2 shown]
	v_mov_b32_e32 v9, 0
	v_mov_b32_e32 v48, 0
	s_waitcnt lgkmcnt(0)
	s_barrier
	s_and_saveexec_b64 s[24:25], s[2:3]
	s_cbranch_execz .LBB8_55
; %bb.54:
	ds_read_b32 v48, v20 offset:7484
.LBB8_55:
	s_or_b64 exec, exec, s[24:25]
	s_waitcnt lgkmcnt(0)
	v_add_u32_e32 v47, v48, v47
	ds_bpermute_b32 v47, v21, v47
	ds_read_b32 v49, v9 offset:7500
	s_mov_b32 s30, 0
	s_mov_b64 s[26:27], 0
	s_waitcnt lgkmcnt(1)
	v_cndmask_b32_e64 v47, v47, v48, s[0:1]
	s_waitcnt lgkmcnt(0)
	v_lshl_add_u32 v48, v49, 16, v47
	v_add_u32_e32 v49, v48, v10
	v_add_u32_e32 v10, v49, v11
	;; [unrolled: 1-line block ×7, first 2 shown]
	ds_write2_b64 v19, v[48:49], v[10:11] offset1:1
	ds_write2_b64 v19, v[12:13], v[6:7] offset0:2 offset1:3
	s_waitcnt lgkmcnt(0)
	s_barrier
	ds_read_u16 v6, v28
	ds_read_u16 v7, v30
	;; [unrolled: 1-line block ×9, first 2 shown]
	v_mov_b32_e32 v33, 1
	v_lshlrev_b32_sdwa v25, v33, v25 dst_sel:DWORD dst_unused:UNUSED_PAD src0_sel:DWORD src1_sel:WORD_0
	s_waitcnt lgkmcnt(8)
	v_lshl_add_u32 v6, v6, 1, v25
	s_waitcnt lgkmcnt(0)
	s_barrier
	ds_write_b16 v6, v2
	v_lshlrev_b32_sdwa v2, v33, v26 dst_sel:DWORD dst_unused:UNUSED_PAD src0_sel:DWORD src1_sel:WORD_0
	v_lshl_add_u32 v2, v7, 1, v2
	ds_write_b16 v2, v46
	v_lshlrev_b32_sdwa v2, v33, v27 dst_sel:DWORD dst_unused:UNUSED_PAD src0_sel:DWORD src1_sel:WORD_0
	v_lshl_add_u32 v2, v8, 1, v2
	ds_write_b16 v2, v3
	v_lshlrev_b32_sdwa v2, v33, v29 dst_sel:DWORD dst_unused:UNUSED_PAD src0_sel:DWORD src1_sel:WORD_0
	v_lshl_add_u32 v2, v10, 1, v2
	ds_write_b16 v2, v45
	v_lshlrev_b32_sdwa v2, v33, v31 dst_sel:DWORD dst_unused:UNUSED_PAD src0_sel:DWORD src1_sel:WORD_0
	v_lshl_add_u32 v2, v11, 1, v2
	ds_write_b16 v2, v4
	v_lshlrev_b32_sdwa v2, v33, v32 dst_sel:DWORD dst_unused:UNUSED_PAD src0_sel:DWORD src1_sel:WORD_0
	v_lshl_add_u32 v2, v12, 1, v2
	ds_write_b16 v2, v44
	v_lshlrev_b32_sdwa v2, v33, v34 dst_sel:DWORD dst_unused:UNUSED_PAD src0_sel:DWORD src1_sel:WORD_0
	v_lshl_add_u32 v2, v13, 1, v2
	ds_write_b16 v2, v5
	v_lshlrev_b32_sdwa v2, v33, v36 dst_sel:DWORD dst_unused:UNUSED_PAD src0_sel:DWORD src1_sel:WORD_0
	v_lshl_add_u32 v2, v28, 1, v2
	ds_write_b16 v2, v43
	v_lshlrev_b32_sdwa v2, v33, v38 dst_sel:DWORD dst_unused:UNUSED_PAD src0_sel:DWORD src1_sel:WORD_0
	v_lshl_add_u32 v2, v30, 1, v2
	ds_write_b16 v2, v24
	s_waitcnt lgkmcnt(0)
	s_barrier
	ds_read_b128 v[2:5], v23
	ds_read_u16 v23, v23 offset:16
	v_mov_b32_e32 v6, v18
	s_waitcnt lgkmcnt(0)
	s_barrier
	s_branch .LBB8_57
.LBB8_56:                               ;   in Loop: Header=BB8_57 Depth=1
	s_or_b64 exec, exec, s[24:25]
	s_add_i32 s30, s30, 2
	v_cmp_eq_u32_e32 vcc, s30, v22
	s_or_b64 s[26:27], vcc, s[26:27]
	v_add_u32_e32 v6, 0x750, v6
	s_andn2_b64 exec, exec, s[26:27]
	s_cbranch_execz .LBB8_61
.LBB8_57:                               ; =>This Inner Loop Header: Depth=1
	s_or_b32 s24, s30, 1
	v_cmp_le_u32_e32 vcc, s24, v1
	v_cmp_le_u32_e64 s[24:25], s30, v16
	s_and_saveexec_b64 s[28:29], s[24:25]
	s_cbranch_execz .LBB8_59
; %bb.58:                               ;   in Loop: Header=BB8_57 Depth=1
	ds_write_b32 v6, v9
.LBB8_59:                               ;   in Loop: Header=BB8_57 Depth=1
	s_or_b64 exec, exec, s[28:29]
	s_and_saveexec_b64 s[24:25], vcc
	s_cbranch_execz .LBB8_56
; %bb.60:                               ;   in Loop: Header=BB8_57 Depth=1
	ds_write_b32 v6, v9 offset:936
	s_branch .LBB8_56
.LBB8_61:
	s_or_b64 exec, exec, s[26:27]
	v_lshrrev_b16_e32 v1, 12, v2
	v_and_b32_e32 v6, 7, v1
	s_movk_i32 s24, 0xea
	v_lshrrev_b32_e32 v1, 2, v1
	v_mad_u32_u24 v6, v6, s24, v0
	v_and_b32_e32 v1, 2, v1
	v_lshl_or_b32 v16, v6, 2, v1
	ds_read_u16 v1, v16
	v_bfe_u32 v6, v2, 28, 3
	v_mad_u32_u24 v6, v6, s24, v0
	s_waitcnt lgkmcnt(0)
	v_add_u16_e32 v7, 1, v1
	ds_write_b16 v16, v7
	v_lshrrev_b32_e32 v7, 30, v2
	v_and_b32_e32 v7, 2, v7
	v_lshl_or_b32 v25, v6, 2, v7
	ds_read_u16 v22, v25
	s_waitcnt lgkmcnt(0)
	v_add_u16_e32 v6, 1, v22
	ds_write_b16 v25, v6
	v_lshrrev_b16_e32 v6, 12, v3
	v_and_b32_e32 v7, 7, v6
	v_lshrrev_b32_e32 v6, 2, v6
	v_mad_u32_u24 v7, v7, s24, v0
	v_and_b32_e32 v6, 2, v6
	v_lshl_or_b32 v28, v7, 2, v6
	ds_read_u16 v24, v28
	v_lshrrev_b32_e32 v7, 30, v3
	v_and_b32_e32 v7, 2, v7
	s_waitcnt lgkmcnt(0)
	v_add_u16_e32 v6, 1, v24
	ds_write_b16 v28, v6
	v_bfe_u32 v6, v3, 28, 3
	v_mad_u32_u24 v6, v6, s24, v0
	v_lshl_or_b32 v30, v6, 2, v7
	ds_read_u16 v26, v30
	s_waitcnt lgkmcnt(0)
	v_add_u16_e32 v6, 1, v26
	ds_write_b16 v30, v6
	v_lshrrev_b16_e32 v6, 12, v4
	v_and_b32_e32 v7, 7, v6
	v_lshrrev_b32_e32 v6, 2, v6
	v_mad_u32_u24 v7, v7, s24, v0
	v_and_b32_e32 v6, 2, v6
	v_lshl_or_b32 v33, v7, 2, v6
	ds_read_u16 v27, v33
	v_lshrrev_b32_e32 v7, 30, v4
	v_and_b32_e32 v7, 2, v7
	s_waitcnt lgkmcnt(0)
	v_add_u16_e32 v6, 1, v27
	ds_write_b16 v33, v6
	v_bfe_u32 v6, v4, 28, 3
	v_mad_u32_u24 v6, v6, s24, v0
	;; [unrolled: 19-line block ×3, first 2 shown]
	v_lshl_or_b32 v36, v6, 2, v7
	ds_read_u16 v32, v36
	s_waitcnt lgkmcnt(0)
	v_add_u16_e32 v6, 1, v32
	ds_write_b16 v36, v6
	v_lshrrev_b16_e32 v6, 12, v23
	v_and_b32_e32 v7, 7, v6
	v_lshrrev_b32_e32 v6, 2, v6
	v_mad_u32_u24 v0, v7, s24, v0
	v_and_b32_e32 v6, 2, v6
	v_lshl_or_b32 v37, v0, 2, v6
	ds_read_u16 v0, v37
	s_waitcnt lgkmcnt(0)
	v_add_u16_e32 v6, 1, v0
	ds_write_b16 v37, v6
	s_waitcnt lgkmcnt(0)
	s_barrier
	ds_read2_b64 v[10:13], v19 offset1:1
	ds_read2_b64 v[6:9], v19 offset0:2 offset1:3
	s_waitcnt lgkmcnt(1)
	v_add_u32_e32 v38, v11, v10
	v_add3_u32 v38, v38, v12, v13
	s_waitcnt lgkmcnt(0)
	v_add3_u32 v38, v38, v6, v7
	v_add3_u32 v9, v38, v8, v9
	s_nop 1
	v_mov_b32_dpp v38, v9 row_shr:1 row_mask:0xf bank_mask:0xf
	v_cndmask_b32_e64 v38, v38, 0, s[22:23]
	v_add_u32_e32 v9, v38, v9
	s_nop 1
	v_mov_b32_dpp v38, v9 row_shr:2 row_mask:0xf bank_mask:0xf
	v_cndmask_b32_e64 v38, 0, v38, s[20:21]
	v_add_u32_e32 v9, v9, v38
	;; [unrolled: 4-line block ×4, first 2 shown]
	s_nop 1
	v_mov_b32_dpp v38, v9 row_bcast:15 row_mask:0xf bank_mask:0xf
	v_cndmask_b32_e64 v38, v38, 0, s[12:13]
	v_add_u32_e32 v9, v9, v38
	s_nop 1
	v_mov_b32_dpp v38, v9 row_bcast:31 row_mask:0xf bank_mask:0xf
	v_cndmask_b32_e64 v38, 0, v38, s[10:11]
	v_add_u32_e32 v41, v9, v38
	s_and_saveexec_b64 s[10:11], s[14:15]
	s_cbranch_execz .LBB8_63
; %bb.62:
	ds_write_b32 v20, v41 offset:7488
.LBB8_63:
	s_or_b64 exec, exec, s[10:11]
	s_waitcnt lgkmcnt(0)
	s_barrier
	s_and_saveexec_b64 s[10:11], s[4:5]
	s_cbranch_execz .LBB8_65
; %bb.64:
	ds_read_b32 v9, v18 offset:7488
	s_waitcnt lgkmcnt(0)
	s_nop 0
	v_mov_b32_dpp v38, v9 row_shr:1 row_mask:0xf bank_mask:0xf
	v_cndmask_b32_e64 v38, v38, 0, s[8:9]
	v_add_u32_e32 v9, v38, v9
	s_nop 1
	v_mov_b32_dpp v38, v9 row_shr:2 row_mask:0xf bank_mask:0xf
	v_cndmask_b32_e64 v38, 0, v38, s[6:7]
	v_add_u32_e32 v9, v9, v38
	ds_write_b32 v18, v9 offset:7488
.LBB8_65:
	s_or_b64 exec, exec, s[10:11]
	v_lshrrev_b32_e32 v40, 16, v2
	v_lshrrev_b32_e32 v39, 16, v3
	;; [unrolled: 1-line block ×4, first 2 shown]
	v_mov_b32_e32 v42, 0
	v_mov_b32_e32 v43, 0
	s_waitcnt lgkmcnt(0)
	s_barrier
	s_and_saveexec_b64 s[4:5], s[2:3]
	s_cbranch_execz .LBB8_67
; %bb.66:
	ds_read_b32 v43, v20 offset:7484
.LBB8_67:
	s_or_b64 exec, exec, s[4:5]
	s_waitcnt lgkmcnt(0)
	v_add_u32_e32 v20, v43, v41
	ds_bpermute_b32 v20, v21, v20
	ds_read_b32 v21, v42 offset:7500
	s_waitcnt lgkmcnt(1)
	v_cndmask_b32_e64 v20, v20, v43, s[0:1]
	s_waitcnt lgkmcnt(0)
	v_lshl_add_u32 v20, v21, 16, v20
	v_add_u32_e32 v21, v20, v10
	v_add_u32_e32 v10, v21, v11
	;; [unrolled: 1-line block ×7, first 2 shown]
	ds_write2_b64 v19, v[20:21], v[10:11] offset1:1
	ds_write2_b64 v19, v[12:13], v[6:7] offset0:2 offset1:3
	s_waitcnt lgkmcnt(0)
	s_barrier
	ds_read_u16 v6, v37
	ds_read_u16 v7, v36
	;; [unrolled: 1-line block ×9, first 2 shown]
	v_mov_b32_e32 v20, 1
	v_lshlrev_b32_sdwa v1, v20, v1 dst_sel:DWORD dst_unused:UNUSED_PAD src0_sel:DWORD src1_sel:WORD_0
	s_waitcnt lgkmcnt(0)
	s_barrier
	v_lshl_add_u32 v1, v16, 1, v1
	ds_write_b16 v1, v2
	v_lshlrev_b32_sdwa v1, v20, v22 dst_sel:DWORD dst_unused:UNUSED_PAD src0_sel:DWORD src1_sel:WORD_0
	v_lshl_add_u32 v1, v19, 1, v1
	ds_write_b16 v1, v40
	v_lshlrev_b32_sdwa v1, v20, v24 dst_sel:DWORD dst_unused:UNUSED_PAD src0_sel:DWORD src1_sel:WORD_0
	;; [unrolled: 3-line block ×7, first 2 shown]
	v_lshlrev_b32_sdwa v0, v20, v0 dst_sel:DWORD dst_unused:UNUSED_PAD src0_sel:DWORD src1_sel:WORD_0
	v_lshl_add_u32 v1, v7, 1, v1
	v_lshl_add_u32 v0, v6, 1, v0
	ds_write_b16 v1, v9
	ds_write_b16 v0, v23
	s_waitcnt lgkmcnt(0)
	s_barrier
.LBB8_68:
	v_add_u32_e32 v0, v18, v17
	ds_read_u16 v4, v0 offset:16
	ds_read_b128 v[0:3], v0
	s_movk_i32 s0, 0x8000
	s_waitcnt lgkmcnt(1)
	v_xor_b32_e32 v4, 0xffff8000, v4
	s_waitcnt lgkmcnt(0)
	v_xor_b32_e32 v5, 0xffff8000, v0
	v_xor_b32_sdwa v0, v0, s0 dst_sel:DWORD dst_unused:UNUSED_PAD src0_sel:WORD_1 src1_sel:DWORD
	v_xor_b32_e32 v6, 0xffff8000, v1
	v_xor_b32_sdwa v1, v1, s0 dst_sel:DWORD dst_unused:UNUSED_PAD src0_sel:WORD_1 src1_sel:DWORD
	;; [unrolled: 2-line block ×4, first 2 shown]
	s_mov_b32 s0, 0x5040100
	v_perm_b32 v3, v3, v8, s0
	v_perm_b32 v2, v2, v7, s0
	v_perm_b32 v1, v1, v6, s0
	v_perm_b32 v0, v0, v5, s0
	global_store_dwordx4 v[14:15], v[0:3], off
	global_store_short v[14:15], v4, off offset:16
	s_endpgm
	.section	.rodata,"a",@progbits
	.p2align	6, 0x0
	.amdhsa_kernel _Z15sort_key_kernelILj234ELj9ELb0ELb0EsEvPT3_jj
		.amdhsa_group_segment_fixed_size 7504
		.amdhsa_private_segment_fixed_size 0
		.amdhsa_kernarg_size 16
		.amdhsa_user_sgpr_count 6
		.amdhsa_user_sgpr_private_segment_buffer 1
		.amdhsa_user_sgpr_dispatch_ptr 0
		.amdhsa_user_sgpr_queue_ptr 0
		.amdhsa_user_sgpr_kernarg_segment_ptr 1
		.amdhsa_user_sgpr_dispatch_id 0
		.amdhsa_user_sgpr_flat_scratch_init 0
		.amdhsa_user_sgpr_kernarg_preload_length 0
		.amdhsa_user_sgpr_kernarg_preload_offset 0
		.amdhsa_user_sgpr_private_segment_size 0
		.amdhsa_uses_dynamic_stack 0
		.amdhsa_system_sgpr_private_segment_wavefront_offset 0
		.amdhsa_system_sgpr_workgroup_id_x 1
		.amdhsa_system_sgpr_workgroup_id_y 0
		.amdhsa_system_sgpr_workgroup_id_z 0
		.amdhsa_system_sgpr_workgroup_info 0
		.amdhsa_system_vgpr_workitem_id 0
		.amdhsa_next_free_vgpr 56
		.amdhsa_next_free_sgpr 34
		.amdhsa_accum_offset 56
		.amdhsa_reserve_vcc 1
		.amdhsa_reserve_flat_scratch 0
		.amdhsa_float_round_mode_32 0
		.amdhsa_float_round_mode_16_64 0
		.amdhsa_float_denorm_mode_32 3
		.amdhsa_float_denorm_mode_16_64 3
		.amdhsa_dx10_clamp 1
		.amdhsa_ieee_mode 1
		.amdhsa_fp16_overflow 0
		.amdhsa_tg_split 0
		.amdhsa_exception_fp_ieee_invalid_op 0
		.amdhsa_exception_fp_denorm_src 0
		.amdhsa_exception_fp_ieee_div_zero 0
		.amdhsa_exception_fp_ieee_overflow 0
		.amdhsa_exception_fp_ieee_underflow 0
		.amdhsa_exception_fp_ieee_inexact 0
		.amdhsa_exception_int_div_zero 0
	.end_amdhsa_kernel
	.section	.text._Z15sort_key_kernelILj234ELj9ELb0ELb0EsEvPT3_jj,"axG",@progbits,_Z15sort_key_kernelILj234ELj9ELb0ELb0EsEvPT3_jj,comdat
.Lfunc_end8:
	.size	_Z15sort_key_kernelILj234ELj9ELb0ELb0EsEvPT3_jj, .Lfunc_end8-_Z15sort_key_kernelILj234ELj9ELb0ELb0EsEvPT3_jj
                                        ; -- End function
	.section	.AMDGPU.csdata,"",@progbits
; Kernel info:
; codeLenInByte = 7964
; NumSgprs: 38
; NumVgprs: 56
; NumAgprs: 0
; TotalNumVgprs: 56
; ScratchSize: 0
; MemoryBound: 0
; FloatMode: 240
; IeeeMode: 1
; LDSByteSize: 7504 bytes/workgroup (compile time only)
; SGPRBlocks: 4
; VGPRBlocks: 6
; NumSGPRsForWavesPerEU: 38
; NumVGPRsForWavesPerEU: 56
; AccumOffset: 56
; Occupancy: 8
; WaveLimiterHint : 0
; COMPUTE_PGM_RSRC2:SCRATCH_EN: 0
; COMPUTE_PGM_RSRC2:USER_SGPR: 6
; COMPUTE_PGM_RSRC2:TRAP_HANDLER: 0
; COMPUTE_PGM_RSRC2:TGID_X_EN: 1
; COMPUTE_PGM_RSRC2:TGID_Y_EN: 0
; COMPUTE_PGM_RSRC2:TGID_Z_EN: 0
; COMPUTE_PGM_RSRC2:TIDIG_COMP_CNT: 0
; COMPUTE_PGM_RSRC3_GFX90A:ACCUM_OFFSET: 13
; COMPUTE_PGM_RSRC3_GFX90A:TG_SPLIT: 0
	.section	.text._Z15sort_key_kernelILj100ELj3ELb0ELb0EtEvPT3_jj,"axG",@progbits,_Z15sort_key_kernelILj100ELj3ELb0ELb0EtEvPT3_jj,comdat
	.protected	_Z15sort_key_kernelILj100ELj3ELb0ELb0EtEvPT3_jj ; -- Begin function _Z15sort_key_kernelILj100ELj3ELb0ELb0EtEvPT3_jj
	.globl	_Z15sort_key_kernelILj100ELj3ELb0ELb0EtEvPT3_jj
	.p2align	8
	.type	_Z15sort_key_kernelILj100ELj3ELb0ELb0EtEvPT3_jj,@function
_Z15sort_key_kernelILj100ELj3ELb0ELb0EtEvPT3_jj: ; @_Z15sort_key_kernelILj100ELj3ELb0ELb0EtEvPT3_jj
; %bb.0:
	s_load_dwordx4 s[28:31], s[4:5], 0x0
	s_mul_i32 s0, s6, 0x12c
	s_mov_b32 s1, 0
	s_lshl_b64 s[0:1], s[0:1], 1
	v_mul_u32_u24_e32 v1, 3, v0
	s_waitcnt lgkmcnt(0)
	s_add_u32 s0, s28, s0
	s_addc_u32 s1, s29, s1
	v_lshlrev_b32_e32 v1, 1, v1
	global_load_dword v21, v1, s[0:1]
	global_load_ushort v20, v1, s[0:1] offset:4
	v_add_co_u32_e32 v10, vcc, s0, v1
	v_mbcnt_lo_u32_b32 v1, -1, 0
	v_mov_b32_e32 v2, s1
	v_mbcnt_hi_u32_b32 v1, -1, v1
	v_addc_co_u32_e32 v11, vcc, 0, v2, vcc
	v_and_b32_e32 v2, 15, v1
	v_cmp_eq_u32_e64 s[20:21], 0, v2
	v_cmp_lt_u32_e64 s[18:19], 1, v2
	v_cmp_lt_u32_e64 s[16:17], 3, v2
	;; [unrolled: 1-line block ×3, first 2 shown]
	v_and_b32_e32 v2, 16, v1
	v_cmp_eq_u32_e64 s[12:13], 0, v2
	v_and_b32_e32 v2, 64, v0
	v_min_u32_e32 v2, 36, v2
	s_cmp_eq_u32 s30, 0
	v_add_u32_e32 v2, 63, v2
	s_cselect_b64 s[0:1], -1, 0
	s_cmp_eq_u32 s31, 16
	v_cmp_eq_u32_e64 s[10:11], v2, v0
	v_add_u32_e32 v2, -1, v1
	v_and_b32_e32 v3, 64, v1
	s_cselect_b64 s[2:3], -1, 0
	v_cmp_lt_i32_e32 vcc, v2, v3
	s_and_b64 s[26:27], s[0:1], s[2:3]
	s_movk_i32 s0, 0x320
	v_cndmask_b32_e32 v2, v2, v1, vcc
	v_cmp_gt_u32_e64 s[22:23], s0, v0
	v_lshlrev_b32_e32 v13, 5, v0
	v_cmp_lt_u32_e64 s[8:9], 31, v1
	v_lshlrev_b32_e32 v17, 2, v2
	v_cmp_eq_u32_e64 s[0:1], 0, v1
	v_lshrrev_b32_e32 v2, 4, v0
	s_movk_i32 s6, 0xffe4
	v_and_b32_e32 v1, 1, v1
	v_cmp_gt_u32_e64 s[4:5], 2, v0
	v_cmp_lt_u32_e64 s[2:3], 63, v0
	v_and_b32_e32 v18, 4, v2
	v_mul_i32_i24_e32 v19, 0xffffffe4, v0
	v_mad_i32_i24 v15, v0, s6, v13
	v_cmp_eq_u32_e64 s[6:7], 0, v1
	v_lshlrev_b32_e32 v16, 1, v0
	s_mov_b64 s[24:25], -1
	s_and_b64 vcc, exec, s[26:27]
	s_cbranch_vccnz .LBB9_40
; %bb.1:
	s_movk_i32 s24, 0x2bc
	v_mov_b32_e32 v1, 0x2bc
	v_cmp_gt_u32_e32 vcc, s24, v0
	v_subb_co_u32_e64 v1, s[24:25], v1, v0, vcc
	s_mov_b32 s24, 0x28f5c29
	v_mul_hi_u32 v1, v1, s24
	v_addc_co_u32_e32 v12, vcc, 0, v1, vcc
	v_lshrrev_b32_e32 v1, 1, v12
	v_add_u32_e32 v2, 1, v1
	v_and_b32_e32 v3, 3, v2
	v_and_b32_e32 v22, 12, v2
	v_mov_b32_e32 v2, 0x320
	v_mov_b32_e32 v1, v12
	v_cmp_lt_u32_e64 s[24:25], 5, v12
	v_cmp_ne_u32_e64 s[26:27], 0, v3
	v_lshl_add_u32 v23, v0, 2, v2
	v_lshl_add_u32 v14, v0, 5, v19
	s_movk_i32 s33, 0x190
	v_mul_u32_u24_e32 v24, 0x190, v3
	v_mov_b32_e32 v25, 0
	v_mov_b32_e32 v26, 1
	s_waitcnt vmcnt(1)
	v_mov_b32_e32 v28, v21
	s_waitcnt vmcnt(0)
	v_mov_b32_e32 v6, v20
	s_branch .LBB9_3
.LBB9_2:                                ;   in Loop: Header=BB9_3 Depth=1
	v_add_u32_e32 v6, v15, v16
	s_barrier
	ds_write_b16 v2, v28
	ds_write_b16 v3, v29
	;; [unrolled: 1-line block ×3, first 2 shown]
	s_waitcnt lgkmcnt(0)
	s_barrier
	ds_read_b32 v28, v6
	ds_read_u16 v6, v6 offset:4
	s_waitcnt lgkmcnt(0)
	s_barrier
	s_cbranch_execz .LBB9_39
.LBB9_3:                                ; =>This Loop Header: Depth=1
                                        ;     Child Loop BB9_7 Depth 2
                                        ;     Child Loop BB9_27 Depth 2
	v_mov_b32_e32 v27, v6
	s_and_saveexec_b64 s[34:35], s[22:23]
	s_cbranch_execz .LBB9_31
; %bb.4:                                ;   in Loop: Header=BB9_3 Depth=1
	v_mov_b32_e32 v5, 0
	s_and_saveexec_b64 s[36:37], s[24:25]
	s_cbranch_execz .LBB9_24
; %bb.5:                                ;   in Loop: Header=BB9_3 Depth=1
	s_mov_b32 s42, 0
	s_mov_b64 s[38:39], 0
	v_mov_b32_e32 v2, v22
	v_mov_b32_e32 v3, v23
	;; [unrolled: 1-line block ×3, first 2 shown]
	s_branch .LBB9_7
.LBB9_6:                                ;   in Loop: Header=BB9_7 Depth=2
	s_or_b64 exec, exec, s[28:29]
	v_add_u32_e32 v2, -4, v2
	s_add_i32 s28, s42, 8
	v_cmp_eq_u32_e32 vcc, 0, v2
	s_add_i32 s42, s43, 2
	v_add_u32_e32 v4, 0xc80, v4
	v_add_u32_e32 v3, 0xc80, v3
	s_or_b64 s[38:39], vcc, s[38:39]
	v_mov_b32_e32 v5, s28
	s_andn2_b64 exec, exec, s[38:39]
	s_cbranch_execz .LBB9_23
.LBB9_7:                                ;   Parent Loop BB9_3 Depth=1
                                        ; =>  This Inner Loop Header: Depth=2
	s_or_b32 s28, s42, 1
	v_cmp_le_u32_e32 vcc, s28, v1
	v_cmp_le_u32_e64 s[28:29], s42, v12
	s_and_saveexec_b64 s[40:41], s[28:29]
	s_cbranch_execz .LBB9_9
; %bb.8:                                ;   in Loop: Header=BB9_7 Depth=2
	ds_write_b32 v4, v25
.LBB9_9:                                ;   in Loop: Header=BB9_7 Depth=2
	s_or_b64 exec, exec, s[40:41]
	s_and_saveexec_b64 s[28:29], vcc
	s_cbranch_execz .LBB9_11
; %bb.10:                               ;   in Loop: Header=BB9_7 Depth=2
	ds_write_b32 v4, v25 offset:400
.LBB9_11:                               ;   in Loop: Header=BB9_7 Depth=2
	s_or_b64 exec, exec, s[28:29]
	s_add_i32 s43, s42, 2
	s_add_i32 s28, s42, 3
	v_cmp_le_u32_e32 vcc, s28, v1
	v_cmp_le_u32_e64 s[28:29], s43, v12
	s_and_saveexec_b64 s[40:41], s[28:29]
	s_cbranch_execz .LBB9_13
; %bb.12:                               ;   in Loop: Header=BB9_7 Depth=2
	ds_write_b32 v3, v25
.LBB9_13:                               ;   in Loop: Header=BB9_7 Depth=2
	s_or_b64 exec, exec, s[40:41]
	s_and_saveexec_b64 s[28:29], vcc
	s_cbranch_execz .LBB9_15
; %bb.14:                               ;   in Loop: Header=BB9_7 Depth=2
	ds_write_b32 v3, v25 offset:400
.LBB9_15:                               ;   in Loop: Header=BB9_7 Depth=2
	s_or_b64 exec, exec, s[28:29]
	s_add_i32 s44, s43, 2
	s_add_i32 s43, s43, 3
	v_cmp_le_u32_e32 vcc, s43, v1
	v_cmp_le_u32_e64 s[28:29], s44, v12
	s_and_saveexec_b64 s[40:41], s[28:29]
	s_cbranch_execz .LBB9_17
; %bb.16:                               ;   in Loop: Header=BB9_7 Depth=2
	ds_write_b32 v3, v25 offset:800
.LBB9_17:                               ;   in Loop: Header=BB9_7 Depth=2
	s_or_b64 exec, exec, s[40:41]
	s_and_saveexec_b64 s[28:29], vcc
	s_cbranch_execz .LBB9_19
; %bb.18:                               ;   in Loop: Header=BB9_7 Depth=2
	ds_write_b32 v3, v25 offset:1200
.LBB9_19:                               ;   in Loop: Header=BB9_7 Depth=2
	s_or_b64 exec, exec, s[28:29]
	s_add_i32 s43, s44, 2
	s_add_i32 s44, s44, 3
	v_cmp_le_u32_e32 vcc, s44, v1
	v_cmp_le_u32_e64 s[28:29], s43, v12
	s_and_saveexec_b64 s[40:41], s[28:29]
	s_cbranch_execz .LBB9_21
; %bb.20:                               ;   in Loop: Header=BB9_7 Depth=2
	ds_write_b32 v3, v25 offset:1600
.LBB9_21:                               ;   in Loop: Header=BB9_7 Depth=2
	s_or_b64 exec, exec, s[40:41]
	s_and_saveexec_b64 s[28:29], vcc
	s_cbranch_execz .LBB9_6
; %bb.22:                               ;   in Loop: Header=BB9_7 Depth=2
	ds_write_b32 v3, v25 offset:2000
	s_branch .LBB9_6
.LBB9_23:                               ;   in Loop: Header=BB9_3 Depth=1
	s_or_b64 exec, exec, s[38:39]
.LBB9_24:                               ;   in Loop: Header=BB9_3 Depth=1
	s_or_b64 exec, exec, s[36:37]
	s_and_b64 exec, exec, s[26:27]
	s_cbranch_execz .LBB9_31
; %bb.25:                               ;   in Loop: Header=BB9_3 Depth=1
	v_mad_u64_u32 v[2:3], s[28:29], v5, s33, v[14:15]
	s_mov_b64 s[36:37], 0
	v_mov_b32_e32 v3, v24
	s_branch .LBB9_27
.LBB9_26:                               ;   in Loop: Header=BB9_27 Depth=2
	s_or_b64 exec, exec, s[28:29]
	v_add_u32_e32 v3, 0xfffffe70, v3
	v_cmp_eq_u32_e32 vcc, 0, v3
	v_add_u32_e32 v5, 2, v5
	s_or_b64 s[36:37], vcc, s[36:37]
	v_add_u32_e32 v2, 0x320, v2
	s_andn2_b64 exec, exec, s[36:37]
	s_cbranch_execz .LBB9_31
.LBB9_27:                               ;   Parent Loop BB9_3 Depth=1
                                        ; =>  This Inner Loop Header: Depth=2
	v_or_b32_e32 v4, 1, v5
	v_cmp_le_u32_e32 vcc, v4, v1
	v_cmp_le_u32_e64 s[28:29], v5, v12
	s_and_saveexec_b64 s[38:39], s[28:29]
	s_cbranch_execz .LBB9_29
; %bb.28:                               ;   in Loop: Header=BB9_27 Depth=2
	ds_write_b32 v2, v25
.LBB9_29:                               ;   in Loop: Header=BB9_27 Depth=2
	s_or_b64 exec, exec, s[38:39]
	s_and_saveexec_b64 s[28:29], vcc
	s_cbranch_execz .LBB9_26
; %bb.30:                               ;   in Loop: Header=BB9_27 Depth=2
	ds_write_b32 v2, v25 offset:400
	s_branch .LBB9_26
.LBB9_31:                               ;   in Loop: Header=BB9_3 Depth=1
	s_or_b64 exec, exec, s[34:35]
	s_sub_i32 s28, s31, s30
	s_min_u32 s28, s28, 4
	s_lshl_b32 s28, -1, s28
	s_not_b32 s28, s28
	v_lshrrev_b32_sdwa v2, s30, v28 dst_sel:DWORD dst_unused:UNUSED_PAD src0_sel:DWORD src1_sel:WORD_0
	v_and_b32_e32 v2, s28, v2
	v_and_b32_e32 v3, 7, v2
	v_mul_u32_u24_e32 v3, 0x64, v3
	v_lshrrev_b32_e32 v2, 3, v2
	v_add_lshl_u32 v3, v3, v0, 1
	v_add_lshl_u32 v31, v3, v2, 1
	ds_read_u16 v30, v31
	v_lshrrev_b32_e32 v29, 16, v28
	v_lshrrev_b32_e32 v2, s30, v29
	v_and_b32_e32 v2, s28, v2
	s_waitcnt lgkmcnt(0)
	v_add_u16_e32 v3, 1, v30
	ds_write_b16 v31, v3
	v_and_b32_e32 v3, 7, v2
	v_mul_u32_u24_e32 v3, 0x64, v3
	v_lshrrev_b32_e32 v2, 3, v2
	v_add_lshl_u32 v3, v3, v0, 1
	v_add_lshl_u32 v33, v3, v2, 1
	ds_read_u16 v32, v33
	s_waitcnt lgkmcnt(0)
	v_add_u16_e32 v2, 1, v32
	ds_write_b16 v33, v2
	v_lshrrev_b32_sdwa v2, s30, v27 dst_sel:DWORD dst_unused:UNUSED_PAD src0_sel:DWORD src1_sel:WORD_0
	v_and_b32_e32 v2, s28, v2
	v_and_b32_e32 v3, 7, v2
	v_mul_u32_u24_e32 v3, 0x64, v3
	v_lshrrev_b32_e32 v2, 3, v2
	v_add_lshl_u32 v3, v3, v0, 1
	v_add_lshl_u32 v35, v3, v2, 1
	ds_read_u16 v34, v35
	s_waitcnt lgkmcnt(0)
	v_add_u16_e32 v2, 1, v34
	ds_write_b16 v35, v2
	s_waitcnt lgkmcnt(0)
	s_barrier
	ds_read2_b64 v[6:9], v13 offset1:1
	ds_read2_b64 v[2:5], v13 offset0:2 offset1:3
	s_waitcnt lgkmcnt(1)
	v_add_u32_e32 v36, v7, v6
	v_add3_u32 v36, v36, v8, v9
	s_waitcnt lgkmcnt(0)
	v_add3_u32 v36, v36, v2, v3
	v_add3_u32 v5, v36, v4, v5
	s_nop 1
	v_mov_b32_dpp v36, v5 row_shr:1 row_mask:0xf bank_mask:0xf
	v_cndmask_b32_e64 v36, v36, 0, s[20:21]
	v_add_u32_e32 v5, v36, v5
	s_nop 1
	v_mov_b32_dpp v36, v5 row_shr:2 row_mask:0xf bank_mask:0xf
	v_cndmask_b32_e64 v36, 0, v36, s[18:19]
	v_add_u32_e32 v5, v5, v36
	;; [unrolled: 4-line block ×4, first 2 shown]
	s_nop 1
	v_mov_b32_dpp v36, v5 row_bcast:15 row_mask:0xf bank_mask:0xf
	v_cndmask_b32_e64 v36, v36, 0, s[12:13]
	v_add_u32_e32 v5, v5, v36
	s_nop 1
	v_mov_b32_dpp v36, v5 row_bcast:31 row_mask:0xf bank_mask:0xf
	v_cndmask_b32_e64 v36, 0, v36, s[8:9]
	v_add_u32_e32 v5, v5, v36
	s_and_saveexec_b64 s[28:29], s[10:11]
	s_cbranch_execz .LBB9_33
; %bb.32:                               ;   in Loop: Header=BB9_3 Depth=1
	ds_write_b32 v18, v5 offset:3200
.LBB9_33:                               ;   in Loop: Header=BB9_3 Depth=1
	s_or_b64 exec, exec, s[28:29]
	s_waitcnt lgkmcnt(0)
	s_barrier
	s_and_saveexec_b64 s[28:29], s[4:5]
	s_cbranch_execz .LBB9_35
; %bb.34:                               ;   in Loop: Header=BB9_3 Depth=1
	ds_read_b32 v36, v15 offset:3200
	s_waitcnt lgkmcnt(0)
	s_nop 0
	v_mov_b32_dpp v37, v36 row_shr:1 row_mask:0xf bank_mask:0xf
	v_cndmask_b32_e64 v37, v37, 0, s[6:7]
	v_add_u32_e32 v36, v37, v36
	ds_write_b32 v15, v36 offset:3200
.LBB9_35:                               ;   in Loop: Header=BB9_3 Depth=1
	s_or_b64 exec, exec, s[28:29]
	v_mov_b32_e32 v36, 0
	s_waitcnt lgkmcnt(0)
	s_barrier
	s_and_saveexec_b64 s[28:29], s[2:3]
	s_cbranch_execz .LBB9_37
; %bb.36:                               ;   in Loop: Header=BB9_3 Depth=1
	ds_read_b32 v36, v18 offset:3196
.LBB9_37:                               ;   in Loop: Header=BB9_3 Depth=1
	s_or_b64 exec, exec, s[28:29]
	s_waitcnt lgkmcnt(0)
	v_add_u32_e32 v5, v36, v5
	ds_bpermute_b32 v37, v17, v5
	ds_read_b32 v38, v25 offset:3204
	s_add_i32 s30, s30, 4
	v_mov_b32_e32 v5, v28
	s_cmp_ge_u32 s30, s31
	s_waitcnt lgkmcnt(1)
	v_cndmask_b32_e64 v36, v37, v36, s[0:1]
	s_waitcnt lgkmcnt(0)
	v_lshl_add_u32 v36, v38, 16, v36
	v_add_u32_e32 v37, v36, v6
	v_add_u32_e32 v6, v37, v7
	;; [unrolled: 1-line block ×7, first 2 shown]
	ds_write2_b64 v13, v[36:37], v[6:7] offset1:1
	ds_write2_b64 v13, v[8:9], v[2:3] offset0:2 offset1:3
	s_waitcnt lgkmcnt(0)
	s_barrier
	ds_read_u16 v2, v31
	ds_read_u16 v3, v33
	;; [unrolled: 1-line block ×3, first 2 shown]
	v_lshlrev_b32_sdwa v6, v26, v30 dst_sel:DWORD dst_unused:UNUSED_PAD src0_sel:DWORD src1_sel:WORD_0
	s_waitcnt lgkmcnt(0)
	v_lshl_add_u32 v2, v2, 1, v6
	v_lshlrev_b32_sdwa v6, v26, v32 dst_sel:DWORD dst_unused:UNUSED_PAD src0_sel:DWORD src1_sel:WORD_0
	v_lshl_add_u32 v3, v3, 1, v6
	v_lshlrev_b32_sdwa v6, v26, v34 dst_sel:DWORD dst_unused:UNUSED_PAD src0_sel:DWORD src1_sel:WORD_0
	v_lshl_add_u32 v4, v4, 1, v6
	s_cbranch_scc0 .LBB9_2
; %bb.38:
                                        ; implicit-def: $vgpr6
                                        ; implicit-def: $vgpr28
.LBB9_39:
	s_mov_b64 s[24:25], 0
	s_barrier
	ds_write_b16 v2, v5
	ds_write_b16 v3, v29
	;; [unrolled: 1-line block ×3, first 2 shown]
	s_waitcnt lgkmcnt(0)
	s_barrier
.LBB9_40:
	s_and_b64 vcc, exec, s[24:25]
	s_cbranch_vccz .LBB9_178
; %bb.41:
	s_and_saveexec_b64 s[26:27], s[22:23]
	s_cbranch_execz .LBB9_69
; %bb.42:
	s_movk_i32 s24, 0x2bc
	v_mov_b32_e32 v1, 0x2bc
	v_cmp_gt_u32_e32 vcc, s24, v0
	v_subb_co_u32_e64 v1, s[24:25], v1, v0, vcc
	s_mov_b32 s24, 0x28f5c29
	v_mul_hi_u32 v2, v1, s24
	v_cndmask_b32_e64 v3, 0, 1, vcc
	v_addc_co_u32_e64 v1, s[24:25], 0, v2, vcc
	v_add_u16_e32 v2, v2, v3
	v_lshrrev_b16_e32 v2, 1, v2
	s_mov_b32 s33, 0
	v_mov_b32_e32 v7, 0
	v_add_u32_e32 v2, 1, v2
	v_cmp_lt_u32_e32 vcc, 5, v1
	s_and_saveexec_b64 s[28:29], vcc
	s_cbranch_execz .LBB9_62
; %bb.43:
	v_mov_b32_e32 v4, 0x320
	v_and_b32_e32 v3, 0xfffc, v2
	v_lshl_add_u32 v4, v0, 2, v4
	s_mov_b64 s[30:31], 0
	v_mov_b32_e32 v5, 0
	v_mov_b32_e32 v6, v15
	s_branch .LBB9_45
.LBB9_44:                               ;   in Loop: Header=BB9_45 Depth=1
	s_or_b64 exec, exec, s[24:25]
	v_add_u32_e32 v3, -4, v3
	s_add_i32 s24, s33, 8
	v_cmp_eq_u32_e32 vcc, 0, v3
	s_add_i32 s33, s36, 2
	v_add_u32_e32 v6, 0xc80, v6
	v_add_u32_e32 v4, 0xc80, v4
	s_or_b64 s[30:31], vcc, s[30:31]
	v_mov_b32_e32 v7, s24
	s_andn2_b64 exec, exec, s[30:31]
	s_cbranch_execz .LBB9_61
.LBB9_45:                               ; =>This Inner Loop Header: Depth=1
	s_or_b32 s24, s33, 1
	v_cmp_le_u32_e32 vcc, s24, v1
	v_cmp_le_u32_e64 s[24:25], s33, v1
	s_and_saveexec_b64 s[34:35], s[24:25]
	s_cbranch_execz .LBB9_47
; %bb.46:                               ;   in Loop: Header=BB9_45 Depth=1
	ds_write_b32 v6, v5
.LBB9_47:                               ;   in Loop: Header=BB9_45 Depth=1
	s_or_b64 exec, exec, s[34:35]
	s_and_saveexec_b64 s[24:25], vcc
	s_cbranch_execz .LBB9_49
; %bb.48:                               ;   in Loop: Header=BB9_45 Depth=1
	ds_write_b32 v6, v5 offset:400
.LBB9_49:                               ;   in Loop: Header=BB9_45 Depth=1
	s_or_b64 exec, exec, s[24:25]
	s_add_i32 s36, s33, 2
	s_add_i32 s24, s33, 3
	v_cmp_le_u32_e32 vcc, s24, v1
	v_cmp_le_u32_e64 s[24:25], s36, v1
	s_and_saveexec_b64 s[34:35], s[24:25]
	s_cbranch_execz .LBB9_51
; %bb.50:                               ;   in Loop: Header=BB9_45 Depth=1
	ds_write_b32 v4, v5
.LBB9_51:                               ;   in Loop: Header=BB9_45 Depth=1
	s_or_b64 exec, exec, s[34:35]
	s_and_saveexec_b64 s[24:25], vcc
	s_cbranch_execz .LBB9_53
; %bb.52:                               ;   in Loop: Header=BB9_45 Depth=1
	ds_write_b32 v4, v5 offset:400
.LBB9_53:                               ;   in Loop: Header=BB9_45 Depth=1
	s_or_b64 exec, exec, s[24:25]
	s_add_i32 s37, s36, 2
	s_add_i32 s36, s36, 3
	v_cmp_le_u32_e32 vcc, s36, v1
	v_cmp_le_u32_e64 s[24:25], s37, v1
	s_and_saveexec_b64 s[34:35], s[24:25]
	s_cbranch_execz .LBB9_55
; %bb.54:                               ;   in Loop: Header=BB9_45 Depth=1
	ds_write_b32 v4, v5 offset:800
.LBB9_55:                               ;   in Loop: Header=BB9_45 Depth=1
	s_or_b64 exec, exec, s[34:35]
	s_and_saveexec_b64 s[24:25], vcc
	s_cbranch_execz .LBB9_57
; %bb.56:                               ;   in Loop: Header=BB9_45 Depth=1
	ds_write_b32 v4, v5 offset:1200
.LBB9_57:                               ;   in Loop: Header=BB9_45 Depth=1
	s_or_b64 exec, exec, s[24:25]
	s_add_i32 s36, s37, 2
	s_add_i32 s37, s37, 3
	v_cmp_le_u32_e32 vcc, s37, v1
	v_cmp_le_u32_e64 s[24:25], s36, v1
	s_and_saveexec_b64 s[34:35], s[24:25]
	s_cbranch_execz .LBB9_59
; %bb.58:                               ;   in Loop: Header=BB9_45 Depth=1
	ds_write_b32 v4, v5 offset:1600
.LBB9_59:                               ;   in Loop: Header=BB9_45 Depth=1
	s_or_b64 exec, exec, s[34:35]
	s_and_saveexec_b64 s[24:25], vcc
	s_cbranch_execz .LBB9_44
; %bb.60:                               ;   in Loop: Header=BB9_45 Depth=1
	ds_write_b32 v4, v5 offset:2000
	s_branch .LBB9_44
.LBB9_61:
	s_or_b64 exec, exec, s[30:31]
.LBB9_62:
	s_or_b64 exec, exec, s[28:29]
	v_and_b32_e32 v3, 3, v2
	v_cmp_ne_u32_e32 vcc, 0, v3
	s_and_b64 exec, exec, vcc
	s_cbranch_execz .LBB9_69
; %bb.63:
	s_movk_i32 s24, 0x190
	v_mul_lo_u32 v2, v7, s24
	v_add3_u32 v2, v19, v2, v13
	v_mul_u32_u24_e32 v3, 0x190, v3
	s_mov_b64 s[28:29], 0
	v_mov_b32_e32 v4, 0
	s_branch .LBB9_65
.LBB9_64:                               ;   in Loop: Header=BB9_65 Depth=1
	s_or_b64 exec, exec, s[24:25]
	v_add_u32_e32 v3, 0xfffffe70, v3
	v_cmp_eq_u32_e32 vcc, 0, v3
	v_add_u32_e32 v7, 2, v7
	s_or_b64 s[28:29], vcc, s[28:29]
	v_add_u32_e32 v2, 0x320, v2
	s_andn2_b64 exec, exec, s[28:29]
	s_cbranch_execz .LBB9_69
.LBB9_65:                               ; =>This Inner Loop Header: Depth=1
	v_or_b32_e32 v5, 1, v7
	v_cmp_le_u32_e32 vcc, v5, v1
	v_cmp_le_u32_e64 s[24:25], v7, v1
	s_and_saveexec_b64 s[30:31], s[24:25]
	s_cbranch_execz .LBB9_67
; %bb.66:                               ;   in Loop: Header=BB9_65 Depth=1
	ds_write_b32 v2, v4
.LBB9_67:                               ;   in Loop: Header=BB9_65 Depth=1
	s_or_b64 exec, exec, s[30:31]
	s_and_saveexec_b64 s[24:25], vcc
	s_cbranch_execz .LBB9_64
; %bb.68:                               ;   in Loop: Header=BB9_65 Depth=1
	ds_write_b32 v2, v4 offset:400
	s_branch .LBB9_64
.LBB9_69:
	s_or_b64 exec, exec, s[26:27]
	s_waitcnt vmcnt(1)
	v_and_b32_e32 v1, 7, v21
	s_movk_i32 s24, 0x64
	v_lshrrev_b32_e32 v2, 2, v21
	v_mad_u32_u24 v1, v1, s24, v0
	v_and_b32_e32 v2, 2, v2
	v_lshl_or_b32 v12, v1, 2, v2
	ds_read_u16 v1, v12
	v_bfe_u32 v2, v21, 16, 3
	v_mad_u32_u24 v2, v2, s24, v0
	s_waitcnt lgkmcnt(0)
	v_add_u16_e32 v3, 1, v1
	ds_write_b16 v12, v3
	v_lshrrev_b32_e32 v3, 18, v21
	v_and_b32_e32 v3, 2, v3
	v_lshl_or_b32 v23, v2, 2, v3
	ds_read_u16 v14, v23
	v_mov_b32_e32 v3, 2
	s_waitcnt vmcnt(0)
	v_lshrrev_b32_sdwa v3, v3, v20 dst_sel:DWORD dst_unused:UNUSED_PAD src0_sel:DWORD src1_sel:WORD_0
	v_and_b32_e32 v3, 2, v3
	s_waitcnt lgkmcnt(0)
	v_add_u16_e32 v2, 1, v14
	ds_write_b16 v23, v2
	v_mov_b32_e32 v2, 7
	v_and_b32_sdwa v2, v20, v2 dst_sel:DWORD dst_unused:UNUSED_PAD src0_sel:WORD_0 src1_sel:DWORD
	v_mad_u32_u24 v2, v2, s24, v0
	v_lshl_or_b32 v24, v2, 2, v3
	ds_read_u16 v22, v24
	s_waitcnt lgkmcnt(0)
	v_add_u16_e32 v2, 1, v22
	ds_write_b16 v24, v2
	s_waitcnt lgkmcnt(0)
	s_barrier
	ds_read2_b64 v[6:9], v13 offset1:1
	ds_read2_b64 v[2:5], v13 offset0:2 offset1:3
	s_waitcnt lgkmcnt(1)
	v_add_u32_e32 v25, v7, v6
	v_add3_u32 v25, v25, v8, v9
	s_waitcnt lgkmcnt(0)
	v_add3_u32 v25, v25, v2, v3
	v_add3_u32 v5, v25, v4, v5
	s_nop 1
	v_mov_b32_dpp v25, v5 row_shr:1 row_mask:0xf bank_mask:0xf
	v_cndmask_b32_e64 v25, v25, 0, s[20:21]
	v_add_u32_e32 v5, v25, v5
	s_nop 1
	v_mov_b32_dpp v25, v5 row_shr:2 row_mask:0xf bank_mask:0xf
	v_cndmask_b32_e64 v25, 0, v25, s[18:19]
	v_add_u32_e32 v5, v5, v25
	;; [unrolled: 4-line block ×4, first 2 shown]
	s_nop 1
	v_mov_b32_dpp v25, v5 row_bcast:15 row_mask:0xf bank_mask:0xf
	v_cndmask_b32_e64 v25, v25, 0, s[12:13]
	v_add_u32_e32 v5, v5, v25
	s_nop 1
	v_mov_b32_dpp v25, v5 row_bcast:31 row_mask:0xf bank_mask:0xf
	v_cndmask_b32_e64 v25, 0, v25, s[8:9]
	v_add_u32_e32 v25, v5, v25
	s_and_saveexec_b64 s[24:25], s[10:11]
	s_cbranch_execz .LBB9_71
; %bb.70:
	ds_write_b32 v18, v25 offset:3200
.LBB9_71:
	s_or_b64 exec, exec, s[24:25]
	s_waitcnt lgkmcnt(0)
	s_barrier
	s_and_saveexec_b64 s[24:25], s[4:5]
	s_cbranch_execz .LBB9_73
; %bb.72:
	ds_read_b32 v5, v15 offset:3200
	s_waitcnt lgkmcnt(0)
	s_nop 0
	v_mov_b32_dpp v26, v5 row_shr:1 row_mask:0xf bank_mask:0xf
	v_cndmask_b32_e64 v26, v26, 0, s[6:7]
	v_add_u32_e32 v5, v26, v5
	ds_write_b32 v15, v5 offset:3200
.LBB9_73:
	s_or_b64 exec, exec, s[24:25]
	v_lshrrev_b32_e32 v5, 16, v21
	v_mov_b32_e32 v26, 0
	v_mov_b32_e32 v27, 0
	s_waitcnt lgkmcnt(0)
	s_barrier
	s_and_saveexec_b64 s[24:25], s[2:3]
	s_cbranch_execz .LBB9_75
; %bb.74:
	ds_read_b32 v27, v18 offset:3196
.LBB9_75:
	s_or_b64 exec, exec, s[24:25]
	s_waitcnt lgkmcnt(0)
	v_add_u32_e32 v25, v27, v25
	ds_bpermute_b32 v25, v17, v25
	ds_read_b32 v26, v26 offset:3204
	s_waitcnt lgkmcnt(1)
	v_cndmask_b32_e64 v25, v25, v27, s[0:1]
	s_waitcnt lgkmcnt(0)
	v_lshl_add_u32 v26, v26, 16, v25
	v_add_u32_e32 v27, v26, v6
	v_add_u32_e32 v6, v27, v7
	;; [unrolled: 1-line block ×7, first 2 shown]
	ds_write2_b64 v13, v[26:27], v[6:7] offset1:1
	ds_write2_b64 v13, v[8:9], v[2:3] offset0:2 offset1:3
	s_waitcnt lgkmcnt(0)
	s_barrier
	ds_read_u16 v2, v12
	ds_read_u16 v3, v23
	ds_read_u16 v4, v24
	v_mov_b32_e32 v6, 1
	v_lshlrev_b32_sdwa v1, v6, v1 dst_sel:DWORD dst_unused:UNUSED_PAD src0_sel:DWORD src1_sel:WORD_0
	s_waitcnt lgkmcnt(2)
	v_lshl_add_u32 v1, v2, 1, v1
	s_waitcnt lgkmcnt(0)
	s_barrier
	ds_write_b16 v1, v21
	v_lshlrev_b32_sdwa v1, v6, v14 dst_sel:DWORD dst_unused:UNUSED_PAD src0_sel:DWORD src1_sel:WORD_0
	v_lshl_add_u32 v1, v3, 1, v1
	ds_write_b16 v1, v5
	v_lshlrev_b32_sdwa v1, v6, v22 dst_sel:DWORD dst_unused:UNUSED_PAD src0_sel:DWORD src1_sel:WORD_0
	v_lshl_add_u32 v1, v4, 1, v1
	ds_write_b16 v1, v20
	v_add_u32_e32 v1, v15, v16
	s_waitcnt lgkmcnt(0)
	s_barrier
	ds_read_u16 v20, v1
	ds_read_u16 v14, v1 offset:2
	ds_read_u16 v12, v1 offset:4
	s_waitcnt lgkmcnt(0)
	s_barrier
	s_and_saveexec_b64 s[26:27], s[22:23]
	s_cbranch_execz .LBB9_103
; %bb.76:
	s_movk_i32 s24, 0x2bc
	v_mov_b32_e32 v2, 0x2bc
	v_cmp_gt_u32_e32 vcc, s24, v0
	v_subb_co_u32_e64 v2, s[24:25], v2, v0, vcc
	s_mov_b32 s24, 0x28f5c29
	v_mul_hi_u32 v3, v2, s24
	v_cndmask_b32_e64 v4, 0, 1, vcc
	v_addc_co_u32_e64 v2, s[24:25], 0, v3, vcc
	v_add_u16_e32 v3, v3, v4
	v_lshrrev_b16_e32 v3, 1, v3
	s_mov_b32 s33, 0
	v_mov_b32_e32 v8, 0
	v_add_u32_e32 v3, 1, v3
	v_cmp_lt_u32_e32 vcc, 5, v2
	s_and_saveexec_b64 s[28:29], vcc
	s_cbranch_execz .LBB9_96
; %bb.77:
	v_mov_b32_e32 v5, 0x320
	v_and_b32_e32 v4, 0xfffc, v3
	v_lshl_add_u32 v5, v0, 2, v5
	s_mov_b64 s[30:31], 0
	v_mov_b32_e32 v6, 0
	v_mov_b32_e32 v7, v15
	s_branch .LBB9_79
.LBB9_78:                               ;   in Loop: Header=BB9_79 Depth=1
	s_or_b64 exec, exec, s[24:25]
	v_add_u32_e32 v4, -4, v4
	s_add_i32 s24, s33, 8
	v_cmp_eq_u32_e32 vcc, 0, v4
	s_add_i32 s33, s36, 2
	v_add_u32_e32 v7, 0xc80, v7
	v_add_u32_e32 v5, 0xc80, v5
	s_or_b64 s[30:31], vcc, s[30:31]
	v_mov_b32_e32 v8, s24
	s_andn2_b64 exec, exec, s[30:31]
	s_cbranch_execz .LBB9_95
.LBB9_79:                               ; =>This Inner Loop Header: Depth=1
	s_or_b32 s24, s33, 1
	v_cmp_le_u32_e32 vcc, s24, v2
	v_cmp_le_u32_e64 s[24:25], s33, v2
	s_and_saveexec_b64 s[34:35], s[24:25]
	s_cbranch_execz .LBB9_81
; %bb.80:                               ;   in Loop: Header=BB9_79 Depth=1
	ds_write_b32 v7, v6
.LBB9_81:                               ;   in Loop: Header=BB9_79 Depth=1
	s_or_b64 exec, exec, s[34:35]
	s_and_saveexec_b64 s[24:25], vcc
	s_cbranch_execz .LBB9_83
; %bb.82:                               ;   in Loop: Header=BB9_79 Depth=1
	ds_write_b32 v7, v6 offset:400
.LBB9_83:                               ;   in Loop: Header=BB9_79 Depth=1
	s_or_b64 exec, exec, s[24:25]
	s_add_i32 s36, s33, 2
	s_add_i32 s24, s33, 3
	v_cmp_le_u32_e32 vcc, s24, v2
	v_cmp_le_u32_e64 s[24:25], s36, v2
	s_and_saveexec_b64 s[34:35], s[24:25]
	s_cbranch_execz .LBB9_85
; %bb.84:                               ;   in Loop: Header=BB9_79 Depth=1
	ds_write_b32 v5, v6
.LBB9_85:                               ;   in Loop: Header=BB9_79 Depth=1
	s_or_b64 exec, exec, s[34:35]
	s_and_saveexec_b64 s[24:25], vcc
	s_cbranch_execz .LBB9_87
; %bb.86:                               ;   in Loop: Header=BB9_79 Depth=1
	ds_write_b32 v5, v6 offset:400
.LBB9_87:                               ;   in Loop: Header=BB9_79 Depth=1
	s_or_b64 exec, exec, s[24:25]
	s_add_i32 s37, s36, 2
	s_add_i32 s36, s36, 3
	v_cmp_le_u32_e32 vcc, s36, v2
	v_cmp_le_u32_e64 s[24:25], s37, v2
	s_and_saveexec_b64 s[34:35], s[24:25]
	s_cbranch_execz .LBB9_89
; %bb.88:                               ;   in Loop: Header=BB9_79 Depth=1
	ds_write_b32 v5, v6 offset:800
.LBB9_89:                               ;   in Loop: Header=BB9_79 Depth=1
	s_or_b64 exec, exec, s[34:35]
	s_and_saveexec_b64 s[24:25], vcc
	s_cbranch_execz .LBB9_91
; %bb.90:                               ;   in Loop: Header=BB9_79 Depth=1
	ds_write_b32 v5, v6 offset:1200
.LBB9_91:                               ;   in Loop: Header=BB9_79 Depth=1
	s_or_b64 exec, exec, s[24:25]
	s_add_i32 s36, s37, 2
	s_add_i32 s37, s37, 3
	v_cmp_le_u32_e32 vcc, s37, v2
	v_cmp_le_u32_e64 s[24:25], s36, v2
	s_and_saveexec_b64 s[34:35], s[24:25]
	s_cbranch_execz .LBB9_93
; %bb.92:                               ;   in Loop: Header=BB9_79 Depth=1
	ds_write_b32 v5, v6 offset:1600
.LBB9_93:                               ;   in Loop: Header=BB9_79 Depth=1
	s_or_b64 exec, exec, s[34:35]
	s_and_saveexec_b64 s[24:25], vcc
	s_cbranch_execz .LBB9_78
; %bb.94:                               ;   in Loop: Header=BB9_79 Depth=1
	ds_write_b32 v5, v6 offset:2000
	s_branch .LBB9_78
.LBB9_95:
	s_or_b64 exec, exec, s[30:31]
.LBB9_96:
	s_or_b64 exec, exec, s[28:29]
	v_and_b32_e32 v4, 3, v3
	v_cmp_ne_u32_e32 vcc, 0, v4
	s_and_b64 exec, exec, vcc
	s_cbranch_execz .LBB9_103
; %bb.97:
	s_movk_i32 s24, 0x190
	v_mul_lo_u32 v3, v8, s24
	v_add3_u32 v3, v19, v3, v13
	v_mul_u32_u24_e32 v4, 0x190, v4
	s_mov_b64 s[28:29], 0
	v_mov_b32_e32 v5, 0
	s_branch .LBB9_99
.LBB9_98:                               ;   in Loop: Header=BB9_99 Depth=1
	s_or_b64 exec, exec, s[24:25]
	v_add_u32_e32 v4, 0xfffffe70, v4
	v_cmp_eq_u32_e32 vcc, 0, v4
	v_add_u32_e32 v8, 2, v8
	s_or_b64 s[28:29], vcc, s[28:29]
	v_add_u32_e32 v3, 0x320, v3
	s_andn2_b64 exec, exec, s[28:29]
	s_cbranch_execz .LBB9_103
.LBB9_99:                               ; =>This Inner Loop Header: Depth=1
	v_or_b32_e32 v6, 1, v8
	v_cmp_le_u32_e32 vcc, v6, v2
	v_cmp_le_u32_e64 s[24:25], v8, v2
	s_and_saveexec_b64 s[30:31], s[24:25]
	s_cbranch_execz .LBB9_101
; %bb.100:                              ;   in Loop: Header=BB9_99 Depth=1
	ds_write_b32 v3, v5
.LBB9_101:                              ;   in Loop: Header=BB9_99 Depth=1
	s_or_b64 exec, exec, s[30:31]
	s_and_saveexec_b64 s[24:25], vcc
	s_cbranch_execz .LBB9_98
; %bb.102:                              ;   in Loop: Header=BB9_99 Depth=1
	ds_write_b32 v3, v5 offset:400
	s_branch .LBB9_98
.LBB9_103:
	s_or_b64 exec, exec, s[26:27]
	v_lshrrev_b16_e32 v2, 4, v20
	v_and_b32_e32 v3, 7, v2
	s_movk_i32 s24, 0x64
	v_lshrrev_b32_e32 v2, 2, v2
	v_mad_u32_u24 v3, v3, s24, v0
	v_and_b32_e32 v2, 2, v2
	v_lshl_or_b32 v22, v3, 2, v2
	ds_read_u16 v21, v22
	v_lshrrev_b16_e32 v2, 4, v14
	s_waitcnt lgkmcnt(0)
	v_add_u16_e32 v3, 1, v21
	ds_write_b16 v22, v3
	v_and_b32_e32 v3, 7, v2
	v_lshrrev_b32_e32 v2, 2, v2
	v_mad_u32_u24 v3, v3, s24, v0
	v_and_b32_e32 v2, 2, v2
	v_lshl_or_b32 v25, v3, 2, v2
	ds_read_u16 v23, v25
	s_waitcnt lgkmcnt(0)
	v_add_u16_e32 v2, 1, v23
	ds_write_b16 v25, v2
	v_lshrrev_b16_e32 v2, 4, v12
	v_and_b32_e32 v3, 7, v2
	v_lshrrev_b32_e32 v2, 2, v2
	v_mad_u32_u24 v3, v3, s24, v0
	v_and_b32_e32 v2, 2, v2
	v_lshl_or_b32 v26, v3, 2, v2
	ds_read_u16 v24, v26
	s_waitcnt lgkmcnt(0)
	v_add_u16_e32 v2, 1, v24
	ds_write_b16 v26, v2
	s_waitcnt lgkmcnt(0)
	s_barrier
	ds_read2_b64 v[6:9], v13 offset1:1
	ds_read2_b64 v[2:5], v13 offset0:2 offset1:3
	s_waitcnt lgkmcnt(1)
	v_add_u32_e32 v27, v7, v6
	v_add3_u32 v27, v27, v8, v9
	s_waitcnt lgkmcnt(0)
	v_add3_u32 v27, v27, v2, v3
	v_add3_u32 v5, v27, v4, v5
	s_nop 1
	v_mov_b32_dpp v27, v5 row_shr:1 row_mask:0xf bank_mask:0xf
	v_cndmask_b32_e64 v27, v27, 0, s[20:21]
	v_add_u32_e32 v5, v27, v5
	s_nop 1
	v_mov_b32_dpp v27, v5 row_shr:2 row_mask:0xf bank_mask:0xf
	v_cndmask_b32_e64 v27, 0, v27, s[18:19]
	v_add_u32_e32 v5, v5, v27
	;; [unrolled: 4-line block ×4, first 2 shown]
	s_nop 1
	v_mov_b32_dpp v27, v5 row_bcast:15 row_mask:0xf bank_mask:0xf
	v_cndmask_b32_e64 v27, v27, 0, s[12:13]
	v_add_u32_e32 v5, v5, v27
	s_nop 1
	v_mov_b32_dpp v27, v5 row_bcast:31 row_mask:0xf bank_mask:0xf
	v_cndmask_b32_e64 v27, 0, v27, s[8:9]
	v_add_u32_e32 v5, v5, v27
	s_and_saveexec_b64 s[24:25], s[10:11]
	s_cbranch_execz .LBB9_105
; %bb.104:
	ds_write_b32 v18, v5 offset:3200
.LBB9_105:
	s_or_b64 exec, exec, s[24:25]
	s_waitcnt lgkmcnt(0)
	s_barrier
	s_and_saveexec_b64 s[24:25], s[4:5]
	s_cbranch_execz .LBB9_107
; %bb.106:
	ds_read_b32 v27, v15 offset:3200
	s_waitcnt lgkmcnt(0)
	s_nop 0
	v_mov_b32_dpp v28, v27 row_shr:1 row_mask:0xf bank_mask:0xf
	v_cndmask_b32_e64 v28, v28, 0, s[6:7]
	v_add_u32_e32 v27, v28, v27
	ds_write_b32 v15, v27 offset:3200
.LBB9_107:
	s_or_b64 exec, exec, s[24:25]
	v_mov_b32_e32 v27, 0
	v_mov_b32_e32 v28, 0
	s_waitcnt lgkmcnt(0)
	s_barrier
	s_and_saveexec_b64 s[24:25], s[2:3]
	s_cbranch_execz .LBB9_109
; %bb.108:
	ds_read_b32 v28, v18 offset:3196
.LBB9_109:
	s_or_b64 exec, exec, s[24:25]
	s_waitcnt lgkmcnt(0)
	v_add_u32_e32 v5, v28, v5
	ds_bpermute_b32 v5, v17, v5
	ds_read_b32 v27, v27 offset:3204
	s_waitcnt lgkmcnt(1)
	v_cndmask_b32_e64 v5, v5, v28, s[0:1]
	s_waitcnt lgkmcnt(0)
	v_lshl_add_u32 v28, v27, 16, v5
	v_add_u32_e32 v29, v28, v6
	v_add_u32_e32 v6, v29, v7
	;; [unrolled: 1-line block ×7, first 2 shown]
	ds_write2_b64 v13, v[28:29], v[6:7] offset1:1
	ds_write2_b64 v13, v[8:9], v[2:3] offset0:2 offset1:3
	s_waitcnt lgkmcnt(0)
	s_barrier
	ds_read_u16 v2, v22
	ds_read_u16 v3, v25
	;; [unrolled: 1-line block ×3, first 2 shown]
	v_mov_b32_e32 v5, 1
	v_lshlrev_b32_sdwa v6, v5, v21 dst_sel:DWORD dst_unused:UNUSED_PAD src0_sel:DWORD src1_sel:WORD_0
	s_waitcnt lgkmcnt(2)
	v_lshl_add_u32 v2, v2, 1, v6
	s_waitcnt lgkmcnt(0)
	s_barrier
	ds_write_b16 v2, v20
	v_lshlrev_b32_sdwa v2, v5, v23 dst_sel:DWORD dst_unused:UNUSED_PAD src0_sel:DWORD src1_sel:WORD_0
	v_lshl_add_u32 v2, v3, 1, v2
	ds_write_b16 v2, v14
	v_lshlrev_b32_sdwa v2, v5, v24 dst_sel:DWORD dst_unused:UNUSED_PAD src0_sel:DWORD src1_sel:WORD_0
	v_lshl_add_u32 v2, v4, 1, v2
	ds_write_b16 v2, v12
	s_waitcnt lgkmcnt(0)
	s_barrier
	ds_read_u16 v20, v1
	ds_read_u16 v14, v1 offset:2
	ds_read_u16 v12, v1 offset:4
	s_waitcnt lgkmcnt(0)
	s_barrier
	s_and_saveexec_b64 s[26:27], s[22:23]
	s_cbranch_execz .LBB9_137
; %bb.110:
	s_movk_i32 s24, 0x2bc
	v_mov_b32_e32 v2, 0x2bc
	v_cmp_gt_u32_e32 vcc, s24, v0
	v_subb_co_u32_e64 v2, s[24:25], v2, v0, vcc
	s_mov_b32 s24, 0x28f5c29
	v_mul_hi_u32 v3, v2, s24
	v_cndmask_b32_e64 v4, 0, 1, vcc
	v_addc_co_u32_e64 v2, s[24:25], 0, v3, vcc
	v_add_u16_e32 v3, v3, v4
	v_lshrrev_b16_e32 v3, 1, v3
	s_mov_b32 s33, 0
	v_mov_b32_e32 v8, 0
	v_add_u32_e32 v3, 1, v3
	v_cmp_lt_u32_e32 vcc, 5, v2
	s_and_saveexec_b64 s[28:29], vcc
	s_cbranch_execz .LBB9_130
; %bb.111:
	v_mov_b32_e32 v5, 0x320
	v_and_b32_e32 v4, 0xfffc, v3
	v_lshl_add_u32 v5, v0, 2, v5
	s_mov_b64 s[30:31], 0
	v_mov_b32_e32 v6, 0
	v_mov_b32_e32 v7, v15
	s_branch .LBB9_113
.LBB9_112:                              ;   in Loop: Header=BB9_113 Depth=1
	s_or_b64 exec, exec, s[24:25]
	v_add_u32_e32 v4, -4, v4
	s_add_i32 s24, s33, 8
	v_cmp_eq_u32_e32 vcc, 0, v4
	s_add_i32 s33, s36, 2
	v_add_u32_e32 v7, 0xc80, v7
	v_add_u32_e32 v5, 0xc80, v5
	s_or_b64 s[30:31], vcc, s[30:31]
	v_mov_b32_e32 v8, s24
	s_andn2_b64 exec, exec, s[30:31]
	s_cbranch_execz .LBB9_129
.LBB9_113:                              ; =>This Inner Loop Header: Depth=1
	s_or_b32 s24, s33, 1
	v_cmp_le_u32_e32 vcc, s24, v2
	v_cmp_le_u32_e64 s[24:25], s33, v2
	s_and_saveexec_b64 s[34:35], s[24:25]
	s_cbranch_execz .LBB9_115
; %bb.114:                              ;   in Loop: Header=BB9_113 Depth=1
	ds_write_b32 v7, v6
.LBB9_115:                              ;   in Loop: Header=BB9_113 Depth=1
	s_or_b64 exec, exec, s[34:35]
	s_and_saveexec_b64 s[24:25], vcc
	s_cbranch_execz .LBB9_117
; %bb.116:                              ;   in Loop: Header=BB9_113 Depth=1
	ds_write_b32 v7, v6 offset:400
.LBB9_117:                              ;   in Loop: Header=BB9_113 Depth=1
	s_or_b64 exec, exec, s[24:25]
	s_add_i32 s36, s33, 2
	s_add_i32 s24, s33, 3
	v_cmp_le_u32_e32 vcc, s24, v2
	v_cmp_le_u32_e64 s[24:25], s36, v2
	s_and_saveexec_b64 s[34:35], s[24:25]
	s_cbranch_execz .LBB9_119
; %bb.118:                              ;   in Loop: Header=BB9_113 Depth=1
	ds_write_b32 v5, v6
.LBB9_119:                              ;   in Loop: Header=BB9_113 Depth=1
	s_or_b64 exec, exec, s[34:35]
	s_and_saveexec_b64 s[24:25], vcc
	s_cbranch_execz .LBB9_121
; %bb.120:                              ;   in Loop: Header=BB9_113 Depth=1
	ds_write_b32 v5, v6 offset:400
.LBB9_121:                              ;   in Loop: Header=BB9_113 Depth=1
	s_or_b64 exec, exec, s[24:25]
	s_add_i32 s37, s36, 2
	s_add_i32 s36, s36, 3
	v_cmp_le_u32_e32 vcc, s36, v2
	v_cmp_le_u32_e64 s[24:25], s37, v2
	s_and_saveexec_b64 s[34:35], s[24:25]
	s_cbranch_execz .LBB9_123
; %bb.122:                              ;   in Loop: Header=BB9_113 Depth=1
	ds_write_b32 v5, v6 offset:800
.LBB9_123:                              ;   in Loop: Header=BB9_113 Depth=1
	s_or_b64 exec, exec, s[34:35]
	s_and_saveexec_b64 s[24:25], vcc
	s_cbranch_execz .LBB9_125
; %bb.124:                              ;   in Loop: Header=BB9_113 Depth=1
	ds_write_b32 v5, v6 offset:1200
.LBB9_125:                              ;   in Loop: Header=BB9_113 Depth=1
	s_or_b64 exec, exec, s[24:25]
	s_add_i32 s36, s37, 2
	s_add_i32 s37, s37, 3
	v_cmp_le_u32_e32 vcc, s37, v2
	v_cmp_le_u32_e64 s[24:25], s36, v2
	s_and_saveexec_b64 s[34:35], s[24:25]
	s_cbranch_execz .LBB9_127
; %bb.126:                              ;   in Loop: Header=BB9_113 Depth=1
	ds_write_b32 v5, v6 offset:1600
.LBB9_127:                              ;   in Loop: Header=BB9_113 Depth=1
	s_or_b64 exec, exec, s[34:35]
	s_and_saveexec_b64 s[24:25], vcc
	s_cbranch_execz .LBB9_112
; %bb.128:                              ;   in Loop: Header=BB9_113 Depth=1
	ds_write_b32 v5, v6 offset:2000
	s_branch .LBB9_112
.LBB9_129:
	s_or_b64 exec, exec, s[30:31]
.LBB9_130:
	s_or_b64 exec, exec, s[28:29]
	v_and_b32_e32 v4, 3, v3
	v_cmp_ne_u32_e32 vcc, 0, v4
	s_and_b64 exec, exec, vcc
	s_cbranch_execz .LBB9_137
; %bb.131:
	s_movk_i32 s24, 0x190
	v_mul_lo_u32 v3, v8, s24
	v_add3_u32 v3, v19, v3, v13
	v_mul_u32_u24_e32 v4, 0x190, v4
	s_mov_b64 s[28:29], 0
	v_mov_b32_e32 v5, 0
	s_branch .LBB9_133
.LBB9_132:                              ;   in Loop: Header=BB9_133 Depth=1
	s_or_b64 exec, exec, s[24:25]
	v_add_u32_e32 v4, 0xfffffe70, v4
	v_cmp_eq_u32_e32 vcc, 0, v4
	v_add_u32_e32 v8, 2, v8
	s_or_b64 s[28:29], vcc, s[28:29]
	v_add_u32_e32 v3, 0x320, v3
	s_andn2_b64 exec, exec, s[28:29]
	s_cbranch_execz .LBB9_137
.LBB9_133:                              ; =>This Inner Loop Header: Depth=1
	v_or_b32_e32 v6, 1, v8
	v_cmp_le_u32_e32 vcc, v6, v2
	v_cmp_le_u32_e64 s[24:25], v8, v2
	s_and_saveexec_b64 s[30:31], s[24:25]
	s_cbranch_execz .LBB9_135
; %bb.134:                              ;   in Loop: Header=BB9_133 Depth=1
	ds_write_b32 v3, v5
.LBB9_135:                              ;   in Loop: Header=BB9_133 Depth=1
	s_or_b64 exec, exec, s[30:31]
	s_and_saveexec_b64 s[24:25], vcc
	s_cbranch_execz .LBB9_132
; %bb.136:                              ;   in Loop: Header=BB9_133 Depth=1
	ds_write_b32 v3, v5 offset:400
	s_branch .LBB9_132
.LBB9_137:
	s_or_b64 exec, exec, s[26:27]
	v_mov_b32_e32 v2, 7
	v_mov_b32_e32 v4, 2
	v_and_b32_sdwa v3, v20, v2 dst_sel:DWORD dst_unused:UNUSED_PAD src0_sel:BYTE_1 src1_sel:DWORD
	s_movk_i32 s24, 0x64
	v_lshrrev_b32_sdwa v5, v4, v20 dst_sel:DWORD dst_unused:UNUSED_PAD src0_sel:DWORD src1_sel:BYTE_1
	v_mad_u32_u24 v3, v3, s24, v0
	v_and_b32_e32 v5, 2, v5
	v_lshl_or_b32 v23, v3, 2, v5
	ds_read_u16 v21, v23
	v_lshrrev_b32_sdwa v5, v4, v14 dst_sel:DWORD dst_unused:UNUSED_PAD src0_sel:DWORD src1_sel:BYTE_1
	v_and_b32_e32 v5, 2, v5
	s_waitcnt lgkmcnt(0)
	v_add_u16_e32 v3, 1, v21
	ds_write_b16 v23, v3
	v_and_b32_sdwa v3, v14, v2 dst_sel:DWORD dst_unused:UNUSED_PAD src0_sel:BYTE_1 src1_sel:DWORD
	v_mad_u32_u24 v3, v3, s24, v0
	v_lshl_or_b32 v25, v3, 2, v5
	ds_read_u16 v22, v25
	v_and_b32_sdwa v2, v12, v2 dst_sel:DWORD dst_unused:UNUSED_PAD src0_sel:BYTE_1 src1_sel:DWORD
	v_mad_u32_u24 v2, v2, s24, v0
	s_waitcnt lgkmcnt(0)
	v_add_u16_e32 v3, 1, v22
	ds_write_b16 v25, v3
	v_lshrrev_b32_sdwa v3, v4, v12 dst_sel:DWORD dst_unused:UNUSED_PAD src0_sel:DWORD src1_sel:BYTE_1
	v_and_b32_e32 v3, 2, v3
	v_lshl_or_b32 v26, v2, 2, v3
	ds_read_u16 v24, v26
	s_waitcnt lgkmcnt(0)
	v_add_u16_e32 v2, 1, v24
	ds_write_b16 v26, v2
	s_waitcnt lgkmcnt(0)
	s_barrier
	ds_read2_b64 v[6:9], v13 offset1:1
	ds_read2_b64 v[2:5], v13 offset0:2 offset1:3
	s_waitcnt lgkmcnt(1)
	v_add_u32_e32 v27, v7, v6
	v_add3_u32 v27, v27, v8, v9
	s_waitcnt lgkmcnt(0)
	v_add3_u32 v27, v27, v2, v3
	v_add3_u32 v5, v27, v4, v5
	s_nop 1
	v_mov_b32_dpp v27, v5 row_shr:1 row_mask:0xf bank_mask:0xf
	v_cndmask_b32_e64 v27, v27, 0, s[20:21]
	v_add_u32_e32 v5, v27, v5
	s_nop 1
	v_mov_b32_dpp v27, v5 row_shr:2 row_mask:0xf bank_mask:0xf
	v_cndmask_b32_e64 v27, 0, v27, s[18:19]
	v_add_u32_e32 v5, v5, v27
	;; [unrolled: 4-line block ×4, first 2 shown]
	s_nop 1
	v_mov_b32_dpp v27, v5 row_bcast:15 row_mask:0xf bank_mask:0xf
	v_cndmask_b32_e64 v27, v27, 0, s[12:13]
	v_add_u32_e32 v5, v5, v27
	s_nop 1
	v_mov_b32_dpp v27, v5 row_bcast:31 row_mask:0xf bank_mask:0xf
	v_cndmask_b32_e64 v27, 0, v27, s[8:9]
	v_add_u32_e32 v5, v5, v27
	s_and_saveexec_b64 s[24:25], s[10:11]
	s_cbranch_execz .LBB9_139
; %bb.138:
	ds_write_b32 v18, v5 offset:3200
.LBB9_139:
	s_or_b64 exec, exec, s[24:25]
	s_waitcnt lgkmcnt(0)
	s_barrier
	s_and_saveexec_b64 s[24:25], s[4:5]
	s_cbranch_execz .LBB9_141
; %bb.140:
	ds_read_b32 v27, v15 offset:3200
	s_waitcnt lgkmcnt(0)
	s_nop 0
	v_mov_b32_dpp v28, v27 row_shr:1 row_mask:0xf bank_mask:0xf
	v_cndmask_b32_e64 v28, v28, 0, s[6:7]
	v_add_u32_e32 v27, v28, v27
	ds_write_b32 v15, v27 offset:3200
.LBB9_141:
	s_or_b64 exec, exec, s[24:25]
	v_mov_b32_e32 v27, 0
	v_mov_b32_e32 v28, 0
	s_waitcnt lgkmcnt(0)
	s_barrier
	s_and_saveexec_b64 s[24:25], s[2:3]
	s_cbranch_execz .LBB9_143
; %bb.142:
	ds_read_b32 v28, v18 offset:3196
.LBB9_143:
	s_or_b64 exec, exec, s[24:25]
	s_waitcnt lgkmcnt(0)
	v_add_u32_e32 v5, v28, v5
	ds_bpermute_b32 v5, v17, v5
	ds_read_b32 v27, v27 offset:3204
	s_waitcnt lgkmcnt(1)
	v_cndmask_b32_e64 v5, v5, v28, s[0:1]
	s_waitcnt lgkmcnt(0)
	v_lshl_add_u32 v28, v27, 16, v5
	v_add_u32_e32 v29, v28, v6
	v_add_u32_e32 v6, v29, v7
	;; [unrolled: 1-line block ×7, first 2 shown]
	ds_write2_b64 v13, v[28:29], v[6:7] offset1:1
	ds_write2_b64 v13, v[8:9], v[2:3] offset0:2 offset1:3
	s_waitcnt lgkmcnt(0)
	s_barrier
	ds_read_u16 v2, v23
	ds_read_u16 v3, v25
	;; [unrolled: 1-line block ×3, first 2 shown]
	v_mov_b32_e32 v5, 1
	v_lshlrev_b32_sdwa v6, v5, v21 dst_sel:DWORD dst_unused:UNUSED_PAD src0_sel:DWORD src1_sel:WORD_0
	s_waitcnt lgkmcnt(2)
	v_lshl_add_u32 v2, v2, 1, v6
	s_waitcnt lgkmcnt(0)
	s_barrier
	ds_write_b16 v2, v20
	v_lshlrev_b32_sdwa v2, v5, v22 dst_sel:DWORD dst_unused:UNUSED_PAD src0_sel:DWORD src1_sel:WORD_0
	v_lshl_add_u32 v2, v3, 1, v2
	ds_write_b16 v2, v14
	v_lshlrev_b32_sdwa v2, v5, v24 dst_sel:DWORD dst_unused:UNUSED_PAD src0_sel:DWORD src1_sel:WORD_0
	v_lshl_add_u32 v2, v4, 1, v2
	ds_write_b16 v2, v12
	s_waitcnt lgkmcnt(0)
	s_barrier
	ds_read_u16 v12, v1
	ds_read_u16 v9, v1 offset:2
	ds_read_u16 v8, v1 offset:4
	s_waitcnt lgkmcnt(0)
	s_barrier
	s_and_saveexec_b64 s[24:25], s[22:23]
	s_cbranch_execz .LBB9_171
; %bb.144:
	s_movk_i32 s22, 0x2bc
	v_mov_b32_e32 v1, 0x2bc
	v_cmp_gt_u32_e32 vcc, s22, v0
	v_subb_co_u32_e64 v1, s[22:23], v1, v0, vcc
	s_mov_b32 s22, 0x28f5c29
	v_mul_hi_u32 v2, v1, s22
	v_cndmask_b32_e64 v3, 0, 1, vcc
	v_addc_co_u32_e64 v1, s[22:23], 0, v2, vcc
	v_add_u16_e32 v2, v2, v3
	v_lshrrev_b16_e32 v2, 1, v2
	s_mov_b32 s33, 0
	v_mov_b32_e32 v7, 0
	v_add_u32_e32 v2, 1, v2
	v_cmp_lt_u32_e32 vcc, 5, v1
	s_and_saveexec_b64 s[26:27], vcc
	s_cbranch_execz .LBB9_164
; %bb.145:
	v_mov_b32_e32 v4, 0x320
	v_and_b32_e32 v3, 0xfffc, v2
	v_lshl_add_u32 v4, v0, 2, v4
	s_mov_b64 s[28:29], 0
	v_mov_b32_e32 v5, 0
	v_mov_b32_e32 v6, v15
	s_branch .LBB9_147
.LBB9_146:                              ;   in Loop: Header=BB9_147 Depth=1
	s_or_b64 exec, exec, s[22:23]
	v_add_u32_e32 v3, -4, v3
	s_add_i32 s22, s33, 8
	v_cmp_eq_u32_e32 vcc, 0, v3
	s_add_i32 s33, s34, 2
	v_add_u32_e32 v6, 0xc80, v6
	v_add_u32_e32 v4, 0xc80, v4
	s_or_b64 s[28:29], vcc, s[28:29]
	v_mov_b32_e32 v7, s22
	s_andn2_b64 exec, exec, s[28:29]
	s_cbranch_execz .LBB9_163
.LBB9_147:                              ; =>This Inner Loop Header: Depth=1
	s_or_b32 s22, s33, 1
	v_cmp_le_u32_e32 vcc, s22, v1
	v_cmp_le_u32_e64 s[22:23], s33, v1
	s_and_saveexec_b64 s[30:31], s[22:23]
	s_cbranch_execz .LBB9_149
; %bb.148:                              ;   in Loop: Header=BB9_147 Depth=1
	ds_write_b32 v6, v5
.LBB9_149:                              ;   in Loop: Header=BB9_147 Depth=1
	s_or_b64 exec, exec, s[30:31]
	s_and_saveexec_b64 s[22:23], vcc
	s_cbranch_execz .LBB9_151
; %bb.150:                              ;   in Loop: Header=BB9_147 Depth=1
	ds_write_b32 v6, v5 offset:400
.LBB9_151:                              ;   in Loop: Header=BB9_147 Depth=1
	s_or_b64 exec, exec, s[22:23]
	s_add_i32 s34, s33, 2
	s_add_i32 s22, s33, 3
	v_cmp_le_u32_e32 vcc, s22, v1
	v_cmp_le_u32_e64 s[22:23], s34, v1
	s_and_saveexec_b64 s[30:31], s[22:23]
	s_cbranch_execz .LBB9_153
; %bb.152:                              ;   in Loop: Header=BB9_147 Depth=1
	ds_write_b32 v4, v5
.LBB9_153:                              ;   in Loop: Header=BB9_147 Depth=1
	s_or_b64 exec, exec, s[30:31]
	s_and_saveexec_b64 s[22:23], vcc
	s_cbranch_execz .LBB9_155
; %bb.154:                              ;   in Loop: Header=BB9_147 Depth=1
	ds_write_b32 v4, v5 offset:400
.LBB9_155:                              ;   in Loop: Header=BB9_147 Depth=1
	s_or_b64 exec, exec, s[22:23]
	s_add_i32 s35, s34, 2
	s_add_i32 s34, s34, 3
	v_cmp_le_u32_e32 vcc, s34, v1
	v_cmp_le_u32_e64 s[22:23], s35, v1
	s_and_saveexec_b64 s[30:31], s[22:23]
	s_cbranch_execz .LBB9_157
; %bb.156:                              ;   in Loop: Header=BB9_147 Depth=1
	ds_write_b32 v4, v5 offset:800
.LBB9_157:                              ;   in Loop: Header=BB9_147 Depth=1
	s_or_b64 exec, exec, s[30:31]
	s_and_saveexec_b64 s[22:23], vcc
	s_cbranch_execz .LBB9_159
; %bb.158:                              ;   in Loop: Header=BB9_147 Depth=1
	ds_write_b32 v4, v5 offset:1200
.LBB9_159:                              ;   in Loop: Header=BB9_147 Depth=1
	s_or_b64 exec, exec, s[22:23]
	s_add_i32 s34, s35, 2
	s_add_i32 s35, s35, 3
	v_cmp_le_u32_e32 vcc, s35, v1
	v_cmp_le_u32_e64 s[22:23], s34, v1
	s_and_saveexec_b64 s[30:31], s[22:23]
	s_cbranch_execz .LBB9_161
; %bb.160:                              ;   in Loop: Header=BB9_147 Depth=1
	ds_write_b32 v4, v5 offset:1600
.LBB9_161:                              ;   in Loop: Header=BB9_147 Depth=1
	s_or_b64 exec, exec, s[30:31]
	s_and_saveexec_b64 s[22:23], vcc
	s_cbranch_execz .LBB9_146
; %bb.162:                              ;   in Loop: Header=BB9_147 Depth=1
	ds_write_b32 v4, v5 offset:2000
	s_branch .LBB9_146
.LBB9_163:
	s_or_b64 exec, exec, s[28:29]
.LBB9_164:
	s_or_b64 exec, exec, s[26:27]
	v_and_b32_e32 v3, 3, v2
	v_cmp_ne_u32_e32 vcc, 0, v3
	s_and_b64 exec, exec, vcc
	s_cbranch_execz .LBB9_171
; %bb.165:
	s_movk_i32 s22, 0x190
	v_mul_lo_u32 v2, v7, s22
	v_add3_u32 v2, v19, v2, v13
	v_mul_u32_u24_e32 v3, 0x190, v3
	s_mov_b64 s[26:27], 0
	v_mov_b32_e32 v4, 0
	s_branch .LBB9_167
.LBB9_166:                              ;   in Loop: Header=BB9_167 Depth=1
	s_or_b64 exec, exec, s[22:23]
	v_add_u32_e32 v3, 0xfffffe70, v3
	v_cmp_eq_u32_e32 vcc, 0, v3
	v_add_u32_e32 v7, 2, v7
	s_or_b64 s[26:27], vcc, s[26:27]
	v_add_u32_e32 v2, 0x320, v2
	s_andn2_b64 exec, exec, s[26:27]
	s_cbranch_execz .LBB9_171
.LBB9_167:                              ; =>This Inner Loop Header: Depth=1
	v_or_b32_e32 v5, 1, v7
	v_cmp_le_u32_e32 vcc, v5, v1
	v_cmp_le_u32_e64 s[22:23], v7, v1
	s_and_saveexec_b64 s[28:29], s[22:23]
	s_cbranch_execz .LBB9_169
; %bb.168:                              ;   in Loop: Header=BB9_167 Depth=1
	ds_write_b32 v2, v4
.LBB9_169:                              ;   in Loop: Header=BB9_167 Depth=1
	s_or_b64 exec, exec, s[28:29]
	s_and_saveexec_b64 s[22:23], vcc
	s_cbranch_execz .LBB9_166
; %bb.170:                              ;   in Loop: Header=BB9_167 Depth=1
	ds_write_b32 v2, v4 offset:400
	s_branch .LBB9_166
.LBB9_171:
	s_or_b64 exec, exec, s[24:25]
	v_lshrrev_b16_e32 v1, 12, v12
	v_and_b32_e32 v2, 7, v1
	s_movk_i32 s22, 0x64
	v_lshrrev_b32_e32 v1, 2, v1
	v_mad_u32_u24 v2, v2, s22, v0
	v_and_b32_e32 v1, 2, v1
	v_lshl_or_b32 v19, v2, 2, v1
	ds_read_u16 v14, v19
	v_lshrrev_b16_e32 v1, 12, v9
	s_waitcnt lgkmcnt(0)
	v_add_u16_e32 v2, 1, v14
	ds_write_b16 v19, v2
	v_and_b32_e32 v2, 7, v1
	v_lshrrev_b32_e32 v1, 2, v1
	v_mad_u32_u24 v2, v2, s22, v0
	v_and_b32_e32 v1, 2, v1
	v_lshl_or_b32 v22, v2, 2, v1
	ds_read_u16 v20, v22
	s_waitcnt lgkmcnt(0)
	v_add_u16_e32 v1, 1, v20
	ds_write_b16 v22, v1
	v_lshrrev_b16_e32 v1, 12, v8
	v_and_b32_e32 v2, 7, v1
	v_lshrrev_b32_e32 v1, 2, v1
	v_mad_u32_u24 v0, v2, s22, v0
	v_and_b32_e32 v1, 2, v1
	v_lshl_or_b32 v23, v0, 2, v1
	ds_read_u16 v21, v23
	s_waitcnt lgkmcnt(0)
	v_add_u16_e32 v0, 1, v21
	ds_write_b16 v23, v0
	s_waitcnt lgkmcnt(0)
	s_barrier
	ds_read2_b64 v[4:7], v13 offset1:1
	ds_read2_b64 v[0:3], v13 offset0:2 offset1:3
	s_waitcnt lgkmcnt(1)
	v_add_u32_e32 v24, v5, v4
	v_add3_u32 v24, v24, v6, v7
	s_waitcnt lgkmcnt(0)
	v_add3_u32 v24, v24, v0, v1
	v_add3_u32 v3, v24, v2, v3
	s_nop 1
	v_mov_b32_dpp v24, v3 row_shr:1 row_mask:0xf bank_mask:0xf
	v_cndmask_b32_e64 v24, v24, 0, s[20:21]
	v_add_u32_e32 v3, v24, v3
	s_nop 1
	v_mov_b32_dpp v24, v3 row_shr:2 row_mask:0xf bank_mask:0xf
	v_cndmask_b32_e64 v24, 0, v24, s[18:19]
	v_add_u32_e32 v3, v3, v24
	;; [unrolled: 4-line block ×4, first 2 shown]
	s_nop 1
	v_mov_b32_dpp v24, v3 row_bcast:15 row_mask:0xf bank_mask:0xf
	v_cndmask_b32_e64 v24, v24, 0, s[12:13]
	v_add_u32_e32 v3, v3, v24
	s_nop 1
	v_mov_b32_dpp v24, v3 row_bcast:31 row_mask:0xf bank_mask:0xf
	v_cndmask_b32_e64 v24, 0, v24, s[8:9]
	v_add_u32_e32 v3, v3, v24
	s_and_saveexec_b64 s[8:9], s[10:11]
	s_cbranch_execz .LBB9_173
; %bb.172:
	ds_write_b32 v18, v3 offset:3200
.LBB9_173:
	s_or_b64 exec, exec, s[8:9]
	s_waitcnt lgkmcnt(0)
	s_barrier
	s_and_saveexec_b64 s[8:9], s[4:5]
	s_cbranch_execz .LBB9_175
; %bb.174:
	ds_read_b32 v24, v15 offset:3200
	s_waitcnt lgkmcnt(0)
	s_nop 0
	v_mov_b32_dpp v25, v24 row_shr:1 row_mask:0xf bank_mask:0xf
	v_cndmask_b32_e64 v25, v25, 0, s[6:7]
	v_add_u32_e32 v24, v25, v24
	ds_write_b32 v15, v24 offset:3200
.LBB9_175:
	s_or_b64 exec, exec, s[8:9]
	v_mov_b32_e32 v24, 0
	v_mov_b32_e32 v25, 0
	s_waitcnt lgkmcnt(0)
	s_barrier
	s_and_saveexec_b64 s[4:5], s[2:3]
	s_cbranch_execz .LBB9_177
; %bb.176:
	ds_read_b32 v25, v18 offset:3196
.LBB9_177:
	s_or_b64 exec, exec, s[4:5]
	s_waitcnt lgkmcnt(0)
	v_add_u32_e32 v3, v25, v3
	ds_bpermute_b32 v3, v17, v3
	ds_read_b32 v17, v24 offset:3204
	s_waitcnt lgkmcnt(1)
	v_cndmask_b32_e64 v3, v3, v25, s[0:1]
	s_waitcnt lgkmcnt(0)
	v_lshl_add_u32 v24, v17, 16, v3
	v_add_u32_e32 v25, v24, v4
	v_add_u32_e32 v4, v25, v5
	;; [unrolled: 1-line block ×7, first 2 shown]
	ds_write2_b64 v13, v[24:25], v[4:5] offset1:1
	ds_write2_b64 v13, v[6:7], v[0:1] offset0:2 offset1:3
	s_waitcnt lgkmcnt(0)
	s_barrier
	ds_read_u16 v0, v23
	ds_read_u16 v1, v22
	;; [unrolled: 1-line block ×3, first 2 shown]
	v_mov_b32_e32 v3, 1
	v_lshlrev_b32_sdwa v4, v3, v14 dst_sel:DWORD dst_unused:UNUSED_PAD src0_sel:DWORD src1_sel:WORD_0
	s_waitcnt lgkmcnt(0)
	s_barrier
	v_lshl_add_u32 v2, v2, 1, v4
	ds_write_b16 v2, v12
	v_lshlrev_b32_sdwa v2, v3, v20 dst_sel:DWORD dst_unused:UNUSED_PAD src0_sel:DWORD src1_sel:WORD_0
	v_lshl_add_u32 v1, v1, 1, v2
	ds_write_b16 v1, v9
	v_lshlrev_b32_sdwa v1, v3, v21 dst_sel:DWORD dst_unused:UNUSED_PAD src0_sel:DWORD src1_sel:WORD_0
	v_lshl_add_u32 v0, v0, 1, v1
	ds_write_b16 v0, v8
	s_waitcnt lgkmcnt(0)
	s_barrier
.LBB9_178:
	v_add_u32_e32 v0, v15, v16
	ds_read_u16 v1, v0 offset:4
	ds_read_b32 v0, v0
	s_waitcnt lgkmcnt(1)
	global_store_short v[10:11], v1, off offset:4
	s_waitcnt lgkmcnt(0)
	global_store_dword v[10:11], v0, off
	s_endpgm
	.section	.rodata,"a",@progbits
	.p2align	6, 0x0
	.amdhsa_kernel _Z15sort_key_kernelILj100ELj3ELb0ELb0EtEvPT3_jj
		.amdhsa_group_segment_fixed_size 3216
		.amdhsa_private_segment_fixed_size 0
		.amdhsa_kernarg_size 16
		.amdhsa_user_sgpr_count 6
		.amdhsa_user_sgpr_private_segment_buffer 1
		.amdhsa_user_sgpr_dispatch_ptr 0
		.amdhsa_user_sgpr_queue_ptr 0
		.amdhsa_user_sgpr_kernarg_segment_ptr 1
		.amdhsa_user_sgpr_dispatch_id 0
		.amdhsa_user_sgpr_flat_scratch_init 0
		.amdhsa_user_sgpr_kernarg_preload_length 0
		.amdhsa_user_sgpr_kernarg_preload_offset 0
		.amdhsa_user_sgpr_private_segment_size 0
		.amdhsa_uses_dynamic_stack 0
		.amdhsa_system_sgpr_private_segment_wavefront_offset 0
		.amdhsa_system_sgpr_workgroup_id_x 1
		.amdhsa_system_sgpr_workgroup_id_y 0
		.amdhsa_system_sgpr_workgroup_id_z 0
		.amdhsa_system_sgpr_workgroup_info 0
		.amdhsa_system_vgpr_workitem_id 0
		.amdhsa_next_free_vgpr 39
		.amdhsa_next_free_sgpr 45
		.amdhsa_accum_offset 40
		.amdhsa_reserve_vcc 1
		.amdhsa_reserve_flat_scratch 0
		.amdhsa_float_round_mode_32 0
		.amdhsa_float_round_mode_16_64 0
		.amdhsa_float_denorm_mode_32 3
		.amdhsa_float_denorm_mode_16_64 3
		.amdhsa_dx10_clamp 1
		.amdhsa_ieee_mode 1
		.amdhsa_fp16_overflow 0
		.amdhsa_tg_split 0
		.amdhsa_exception_fp_ieee_invalid_op 0
		.amdhsa_exception_fp_denorm_src 0
		.amdhsa_exception_fp_ieee_div_zero 0
		.amdhsa_exception_fp_ieee_overflow 0
		.amdhsa_exception_fp_ieee_underflow 0
		.amdhsa_exception_fp_ieee_inexact 0
		.amdhsa_exception_int_div_zero 0
	.end_amdhsa_kernel
	.section	.text._Z15sort_key_kernelILj100ELj3ELb0ELb0EtEvPT3_jj,"axG",@progbits,_Z15sort_key_kernelILj100ELj3ELb0ELb0EtEvPT3_jj,comdat
.Lfunc_end9:
	.size	_Z15sort_key_kernelILj100ELj3ELb0ELb0EtEvPT3_jj, .Lfunc_end9-_Z15sort_key_kernelILj100ELj3ELb0ELb0EtEvPT3_jj
                                        ; -- End function
	.section	.AMDGPU.csdata,"",@progbits
; Kernel info:
; codeLenInByte = 7164
; NumSgprs: 49
; NumVgprs: 39
; NumAgprs: 0
; TotalNumVgprs: 39
; ScratchSize: 0
; MemoryBound: 0
; FloatMode: 240
; IeeeMode: 1
; LDSByteSize: 3216 bytes/workgroup (compile time only)
; SGPRBlocks: 6
; VGPRBlocks: 4
; NumSGPRsForWavesPerEU: 49
; NumVGPRsForWavesPerEU: 39
; AccumOffset: 40
; Occupancy: 8
; WaveLimiterHint : 0
; COMPUTE_PGM_RSRC2:SCRATCH_EN: 0
; COMPUTE_PGM_RSRC2:USER_SGPR: 6
; COMPUTE_PGM_RSRC2:TRAP_HANDLER: 0
; COMPUTE_PGM_RSRC2:TGID_X_EN: 1
; COMPUTE_PGM_RSRC2:TGID_Y_EN: 0
; COMPUTE_PGM_RSRC2:TGID_Z_EN: 0
; COMPUTE_PGM_RSRC2:TIDIG_COMP_CNT: 0
; COMPUTE_PGM_RSRC3_GFX90A:ACCUM_OFFSET: 9
; COMPUTE_PGM_RSRC3_GFX90A:TG_SPLIT: 0
	.section	.text._Z15sort_key_kernelILj464ELj2ELb1ELb1EcEvPT3_jj,"axG",@progbits,_Z15sort_key_kernelILj464ELj2ELb1ELb1EcEvPT3_jj,comdat
	.protected	_Z15sort_key_kernelILj464ELj2ELb1ELb1EcEvPT3_jj ; -- Begin function _Z15sort_key_kernelILj464ELj2ELb1ELb1EcEvPT3_jj
	.globl	_Z15sort_key_kernelILj464ELj2ELb1ELb1EcEvPT3_jj
	.p2align	8
	.type	_Z15sort_key_kernelILj464ELj2ELb1ELb1EcEvPT3_jj,@function
_Z15sort_key_kernelILj464ELj2ELb1ELb1EcEvPT3_jj: ; @_Z15sort_key_kernelILj464ELj2ELb1ELb1EcEvPT3_jj
; %bb.0:
	s_load_dwordx4 s[28:31], s[4:5], 0x0
	s_mulk_i32 s6, 0x3a0
	v_lshlrev_b32_e32 v12, 1, v0
	s_movk_i32 s10, 0x7f
	s_mov_b64 s[4:5], -1
	s_waitcnt lgkmcnt(0)
	s_add_u32 s28, s28, s6
	s_addc_u32 s29, s29, 0
	global_load_ushort v1, v12, s[28:29]
	s_cmp_lg_u32 s30, 0
	s_cselect_b64 s[6:7], -1, 0
	s_cmp_lg_u32 s31, 8
	s_cselect_b64 s[8:9], -1, 0
	s_or_b64 s[6:7], s[6:7], s[8:9]
	v_mbcnt_lo_u32_b32 v16, -1, 0
	v_lshlrev_b32_e32 v11, 5, v0
	v_cmp_gt_u32_e64 s[0:1], 8, v0
	v_cmp_lt_u32_e64 s[2:3], 63, v0
	v_lshrrev_b32_e32 v15, 4, v0
	v_lshlrev_b32_e32 v17, 2, v0
	s_and_b64 vcc, exec, s[6:7]
	s_waitcnt vmcnt(0)
	v_xor_b32_e32 v14, 0x7f, v1
	v_xor_b32_sdwa v13, v1, s10 dst_sel:DWORD dst_unused:UNUSED_PAD src0_sel:BYTE_1 src1_sel:DWORD
	s_cbranch_vccz .LBB10_18
; %bb.1:
	v_lshlrev_b16_e32 v1, 8, v13
	v_or_b32_sdwa v1, v14, v1 dst_sel:DWORD dst_unused:UNUSED_PAD src0_sel:BYTE_0 src1_sel:DWORD
	v_and_b32_e32 v2, 0xffff, v1
	v_mbcnt_hi_u32_b32 v1, -1, v16
	v_and_b32_e32 v3, 15, v1
	v_cmp_eq_u32_e64 s[4:5], 0, v3
	v_cmp_lt_u32_e64 s[6:7], 1, v3
	v_cmp_lt_u32_e64 s[8:9], 3, v3
	;; [unrolled: 1-line block ×3, first 2 shown]
	v_and_b32_e32 v3, 16, v1
	v_cmp_eq_u32_e64 s[12:13], 0, v3
	v_and_b32_e32 v3, 0x1c0, v0
	v_min_u32_e32 v3, 0x190, v3
	v_add_u32_e32 v3, 63, v3
	v_cmp_eq_u32_e64 s[16:17], v3, v0
	v_add_u32_e32 v3, -1, v1
	v_and_b32_e32 v4, 64, v1
	v_cmp_lt_i32_e32 vcc, v3, v4
	v_cmp_lt_u32_e64 s[14:15], 31, v1
	v_cndmask_b32_e32 v3, v3, v1, vcc
	v_cmp_eq_u32_e64 s[18:19], 0, v1
	v_and_b32_e32 v1, 7, v1
	v_cmp_eq_u32_e64 s[20:21], 0, v1
	v_cmp_lt_u32_e64 s[22:23], 1, v1
	v_cmp_lt_u32_e64 s[24:25], 3, v1
	v_sub_u32_e32 v1, 0xcaf, v0
	v_mul_hi_u32_u24_e32 v1, 0x8d3dcc, v1
	v_lshlrev_b32_e32 v18, 2, v3
	v_lshlrev_b32_e32 v20, 2, v0
	v_sub_u32_e32 v3, 0, v12
	v_add_u32_e32 v4, 3, v1
	v_add_u32_e32 v10, 1, v1
	v_and_b32_e32 v19, 28, v15
	v_and_b32_e32 v21, 30, v4
	v_mov_b32_e32 v1, v10
	v_mov_b32_e32 v22, 0
	v_add_u32_e32 v23, v20, v3
	s_branch .LBB10_3
.LBB10_2:                               ;   in Loop: Header=BB10_3 Depth=1
	v_add_u32_sdwa v2, v4, v25 dst_sel:DWORD dst_unused:UNUSED_PAD src0_sel:DWORD src1_sel:WORD_0
	s_barrier
	ds_write_b8 v2, v24
	v_add_u32_sdwa v2, v3, v27 dst_sel:DWORD dst_unused:UNUSED_PAD src0_sel:DWORD src1_sel:WORD_0
	ds_write_b8 v2, v26
	s_waitcnt lgkmcnt(0)
	s_barrier
	ds_read_u16 v2, v23
	s_waitcnt lgkmcnt(0)
	s_barrier
	s_cbranch_execz .LBB10_17
.LBB10_3:                               ; =>This Loop Header: Depth=1
                                        ;     Child Loop BB10_5 Depth 2
	v_mov_b32_e32 v24, v2
	s_mov_b32 s33, 0
	s_mov_b64 s[34:35], 0
	v_mov_b32_e32 v2, v20
	s_branch .LBB10_5
.LBB10_4:                               ;   in Loop: Header=BB10_5 Depth=2
	s_or_b64 exec, exec, s[26:27]
	s_add_i32 s33, s33, 2
	v_cmp_eq_u32_e32 vcc, s33, v21
	s_or_b64 s[34:35], vcc, s[34:35]
	v_add_u32_e32 v2, 0xe80, v2
	s_andn2_b64 exec, exec, s[34:35]
	s_cbranch_execz .LBB10_9
.LBB10_5:                               ;   Parent Loop BB10_3 Depth=1
                                        ; =>  This Inner Loop Header: Depth=2
	s_or_b32 s26, s33, 1
	v_cmp_le_u32_e32 vcc, s26, v1
	v_cmp_le_u32_e64 s[26:27], s33, v10
	s_and_saveexec_b64 s[36:37], s[26:27]
	s_cbranch_execz .LBB10_7
; %bb.6:                                ;   in Loop: Header=BB10_5 Depth=2
	ds_write_b32 v2, v22
.LBB10_7:                               ;   in Loop: Header=BB10_5 Depth=2
	s_or_b64 exec, exec, s[36:37]
	s_and_saveexec_b64 s[26:27], vcc
	s_cbranch_execz .LBB10_4
; %bb.8:                                ;   in Loop: Header=BB10_5 Depth=2
	ds_write_b32 v2, v22 offset:1856
	s_branch .LBB10_4
.LBB10_9:                               ;   in Loop: Header=BB10_3 Depth=1
	s_or_b64 exec, exec, s[34:35]
	s_sub_i32 s26, s31, s30
	s_min_u32 s26, s26, 4
	s_lshl_b32 s26, -1, s26
	s_not_b32 s26, s26
	v_lshrrev_b32_sdwa v2, s30, v24 dst_sel:DWORD dst_unused:UNUSED_PAD src0_sel:DWORD src1_sel:BYTE_0
	v_and_b32_e32 v2, s26, v2
	v_and_b32_e32 v3, 7, v2
	v_mul_u32_u24_e32 v3, 0x1d0, v3
	v_lshrrev_b32_e32 v2, 3, v2
	v_add_lshl_u32 v3, v3, v0, 1
	v_add_lshl_u32 v28, v3, v2, 1
	ds_read_u16 v25, v28
	v_lshrrev_b16_e32 v26, 8, v24
	v_lshrrev_b32_e32 v2, s30, v26
	v_and_b32_e32 v2, s26, v2
	s_waitcnt lgkmcnt(0)
	v_add_u16_e32 v3, 1, v25
	ds_write_b16 v28, v3
	v_and_b32_e32 v3, 7, v2
	v_mul_u32_u24_e32 v3, 0x1d0, v3
	v_lshrrev_b32_e32 v2, 3, v2
	v_add_lshl_u32 v3, v3, v0, 1
	v_add_lshl_u32 v29, v3, v2, 1
	ds_read_u16 v27, v29
	s_waitcnt lgkmcnt(0)
	v_add_u16_e32 v2, 1, v27
	ds_write_b16 v29, v2
	s_waitcnt lgkmcnt(0)
	s_barrier
	ds_read2_b64 v[6:9], v11 offset1:1
	ds_read2_b64 v[2:5], v11 offset0:2 offset1:3
	s_waitcnt lgkmcnt(1)
	v_add_u32_e32 v30, v7, v6
	v_add3_u32 v30, v30, v8, v9
	s_waitcnt lgkmcnt(0)
	v_add3_u32 v30, v30, v2, v3
	v_add3_u32 v5, v30, v4, v5
	s_nop 1
	v_mov_b32_dpp v30, v5 row_shr:1 row_mask:0xf bank_mask:0xf
	v_cndmask_b32_e64 v30, v30, 0, s[4:5]
	v_add_u32_e32 v5, v30, v5
	s_nop 1
	v_mov_b32_dpp v30, v5 row_shr:2 row_mask:0xf bank_mask:0xf
	v_cndmask_b32_e64 v30, 0, v30, s[6:7]
	v_add_u32_e32 v5, v5, v30
	s_nop 1
	v_mov_b32_dpp v30, v5 row_shr:4 row_mask:0xf bank_mask:0xf
	v_cndmask_b32_e64 v30, 0, v30, s[8:9]
	v_add_u32_e32 v5, v5, v30
	s_nop 1
	v_mov_b32_dpp v30, v5 row_shr:8 row_mask:0xf bank_mask:0xf
	v_cndmask_b32_e64 v30, 0, v30, s[10:11]
	v_add_u32_e32 v5, v5, v30
	s_nop 1
	v_mov_b32_dpp v30, v5 row_bcast:15 row_mask:0xf bank_mask:0xf
	v_cndmask_b32_e64 v30, v30, 0, s[12:13]
	v_add_u32_e32 v5, v5, v30
	s_nop 1
	v_mov_b32_dpp v30, v5 row_bcast:31 row_mask:0xf bank_mask:0xf
	v_cndmask_b32_e64 v30, 0, v30, s[14:15]
	v_add_u32_e32 v5, v5, v30
	s_and_saveexec_b64 s[26:27], s[16:17]
	s_cbranch_execz .LBB10_11
; %bb.10:                               ;   in Loop: Header=BB10_3 Depth=1
	ds_write_b32 v19, v5 offset:14848
.LBB10_11:                              ;   in Loop: Header=BB10_3 Depth=1
	s_or_b64 exec, exec, s[26:27]
	s_waitcnt lgkmcnt(0)
	s_barrier
	s_and_saveexec_b64 s[26:27], s[0:1]
	s_cbranch_execz .LBB10_13
; %bb.12:                               ;   in Loop: Header=BB10_3 Depth=1
	ds_read_b32 v30, v20 offset:14848
	s_waitcnt lgkmcnt(0)
	s_nop 0
	v_mov_b32_dpp v31, v30 row_shr:1 row_mask:0xf bank_mask:0xf
	v_cndmask_b32_e64 v31, v31, 0, s[20:21]
	v_add_u32_e32 v30, v31, v30
	s_nop 1
	v_mov_b32_dpp v31, v30 row_shr:2 row_mask:0xf bank_mask:0xf
	v_cndmask_b32_e64 v31, 0, v31, s[22:23]
	v_add_u32_e32 v30, v30, v31
	;; [unrolled: 4-line block ×3, first 2 shown]
	ds_write_b32 v20, v30 offset:14848
.LBB10_13:                              ;   in Loop: Header=BB10_3 Depth=1
	s_or_b64 exec, exec, s[26:27]
	v_mov_b32_e32 v30, 0
	s_waitcnt lgkmcnt(0)
	s_barrier
	s_and_saveexec_b64 s[26:27], s[2:3]
	s_cbranch_execz .LBB10_15
; %bb.14:                               ;   in Loop: Header=BB10_3 Depth=1
	ds_read_b32 v30, v19 offset:14844
.LBB10_15:                              ;   in Loop: Header=BB10_3 Depth=1
	s_or_b64 exec, exec, s[26:27]
	s_waitcnt lgkmcnt(0)
	v_add_u32_e32 v5, v30, v5
	ds_bpermute_b32 v5, v18, v5
	ds_read_b32 v31, v22 offset:14876
	s_add_i32 s30, s30, 4
	s_cmp_ge_u32 s30, s31
	s_waitcnt lgkmcnt(1)
	v_cndmask_b32_e64 v5, v5, v30, s[18:19]
	s_waitcnt lgkmcnt(0)
	v_lshl_add_u32 v30, v31, 16, v5
	v_add_u32_e32 v31, v30, v6
	v_add_u32_e32 v6, v31, v7
	;; [unrolled: 1-line block ×7, first 2 shown]
	ds_write2_b64 v11, v[30:31], v[6:7] offset1:1
	ds_write2_b64 v11, v[8:9], v[2:3] offset0:2 offset1:3
	s_waitcnt lgkmcnt(0)
	s_barrier
	ds_read_u16 v4, v28
	ds_read_u16 v3, v29
	s_waitcnt lgkmcnt(0)
	s_cbranch_scc0 .LBB10_2
; %bb.16:
                                        ; implicit-def: $vgpr2
.LBB10_17:
	v_add_u32_sdwa v1, v4, v25 dst_sel:DWORD dst_unused:UNUSED_PAD src0_sel:DWORD src1_sel:WORD_0
	s_barrier
	ds_write_b8 v1, v24
	v_add_u32_sdwa v1, v3, v27 dst_sel:DWORD dst_unused:UNUSED_PAD src0_sel:DWORD src1_sel:WORD_0
	s_mov_b64 s[4:5], 0
	ds_write_b8 v1, v26
	s_waitcnt lgkmcnt(0)
	s_barrier
.LBB10_18:
	s_and_b64 vcc, exec, s[4:5]
	s_cbranch_vccz .LBB10_44
; %bb.19:
	v_sub_u32_e32 v1, 0xcaf, v0
	v_mul_hi_u32_u24_e32 v1, 0x8d3dcc, v1
	v_add_u32_e32 v2, 3, v1
	v_add_u32_e32 v10, 1, v1
	v_and_b32_e32 v18, 30, v2
	v_mov_b32_e32 v1, v10
	s_mov_b32 s6, 0
	s_mov_b64 s[2:3], 0
	v_mov_b32_e32 v2, 0
	s_branch .LBB10_21
.LBB10_20:                              ;   in Loop: Header=BB10_21 Depth=1
	s_or_b64 exec, exec, s[0:1]
	s_add_i32 s6, s6, 2
	v_cmp_eq_u32_e32 vcc, s6, v18
	s_or_b64 s[2:3], vcc, s[2:3]
	v_add_u32_e32 v17, 0xe80, v17
	s_andn2_b64 exec, exec, s[2:3]
	s_cbranch_execz .LBB10_25
.LBB10_21:                              ; =>This Inner Loop Header: Depth=1
	s_or_b32 s0, s6, 1
	v_cmp_le_u32_e32 vcc, s0, v1
	v_cmp_le_u32_e64 s[0:1], s6, v10
	s_and_saveexec_b64 s[4:5], s[0:1]
	s_cbranch_execz .LBB10_23
; %bb.22:                               ;   in Loop: Header=BB10_21 Depth=1
	ds_write_b32 v17, v2
.LBB10_23:                              ;   in Loop: Header=BB10_21 Depth=1
	s_or_b64 exec, exec, s[4:5]
	s_and_saveexec_b64 s[0:1], vcc
	s_cbranch_execz .LBB10_20
; %bb.24:                               ;   in Loop: Header=BB10_21 Depth=1
	ds_write_b32 v17, v2 offset:1856
	s_branch .LBB10_20
.LBB10_25:
	s_or_b64 exec, exec, s[2:3]
	v_lshrrev_b16_e32 v2, 2, v14
	v_and_b32_e32 v3, 7, v14
	s_movk_i32 s0, 0x1d0
	v_mad_u32_u24 v3, v3, s0, v0
	v_and_b32_e32 v2, 2, v2
	v_lshl_or_b32 v20, v3, 2, v2
	ds_read_u16 v19, v20
	v_and_b32_e32 v4, 7, v13
	v_mad_u32_u24 v4, v4, s0, v0
	v_mbcnt_hi_u32_b32 v23, -1, v16
	v_and_b32_e32 v2, 16, v23
	s_waitcnt lgkmcnt(0)
	v_add_u16_e32 v3, 1, v19
	ds_write_b16 v20, v3
	v_lshrrev_b16_e32 v3, 2, v13
	v_and_b32_e32 v3, 2, v3
	v_lshl_or_b32 v22, v4, 2, v3
	ds_read_u16 v21, v22
	v_and_b32_e32 v3, 0x1c0, v0
	v_cmp_eq_u32_e32 vcc, 0, v2
	v_min_u32_e32 v3, 0x190, v3
	v_add_u32_e32 v3, 63, v3
	s_waitcnt lgkmcnt(0)
	v_add_u16_e32 v2, 1, v21
	ds_write_b16 v22, v2
	s_waitcnt lgkmcnt(0)
	s_barrier
	ds_read2_b64 v[6:9], v11 offset1:1
	v_cmp_eq_u32_e64 s[0:1], v3, v0
	ds_read2_b64 v[2:5], v11 offset0:2 offset1:3
	v_and_b32_e32 v17, 15, v23
	v_cmp_eq_u32_e64 s[8:9], 0, v17
	s_waitcnt lgkmcnt(1)
	v_add_u32_e32 v25, v7, v6
	v_add3_u32 v25, v25, v8, v9
	s_waitcnt lgkmcnt(0)
	v_add3_u32 v25, v25, v2, v3
	v_add3_u32 v5, v25, v4, v5
	v_cmp_lt_u32_e64 s[10:11], 1, v17
	v_cmp_lt_u32_e64 s[12:13], 3, v17
	v_mov_b32_dpp v25, v5 row_shr:1 row_mask:0xf bank_mask:0xf
	v_cndmask_b32_e64 v25, v25, 0, s[8:9]
	v_add_u32_e32 v5, v25, v5
	v_cmp_lt_u32_e64 s[16:17], 7, v17
	v_bfe_i32 v24, v23, 4, 1
	v_mov_b32_dpp v25, v5 row_shr:2 row_mask:0xf bank_mask:0xf
	v_cndmask_b32_e64 v25, 0, v25, s[10:11]
	v_add_u32_e32 v5, v5, v25
	v_cmp_lt_u32_e64 s[18:19], 31, v23
	v_and_b32_e32 v15, 28, v15
	v_mov_b32_dpp v25, v5 row_shr:4 row_mask:0xf bank_mask:0xf
	v_cndmask_b32_e64 v25, 0, v25, s[12:13]
	v_add_u32_e32 v5, v5, v25
	v_mul_i32_i24_e32 v16, 0xffffffe4, v0
	s_nop 0
	v_mov_b32_dpp v25, v5 row_shr:8 row_mask:0xf bank_mask:0xf
	v_cndmask_b32_e64 v17, 0, v25, s[16:17]
	v_add_u32_e32 v5, v5, v17
	s_nop 1
	v_mov_b32_dpp v17, v5 row_bcast:15 row_mask:0xf bank_mask:0xf
	v_and_b32_e32 v17, v24, v17
	v_add_u32_e32 v5, v5, v17
	s_nop 1
	v_mov_b32_dpp v17, v5 row_bcast:31 row_mask:0xf bank_mask:0xf
	v_cndmask_b32_e64 v17, 0, v17, s[18:19]
	v_add_u32_e32 v24, v5, v17
	s_and_saveexec_b64 s[2:3], s[0:1]
	s_cbranch_execz .LBB10_27
; %bb.26:
	ds_write_b32 v15, v24 offset:14848
.LBB10_27:
	s_or_b64 exec, exec, s[2:3]
	v_and_b32_e32 v5, 7, v23
	v_cmp_gt_u32_e64 s[14:15], 8, v0
	v_cmp_lt_u32_e64 s[2:3], 1, v5
	v_add_u32_e32 v16, v11, v16
	v_cmp_eq_u32_e64 s[6:7], 0, v5
	v_cmp_lt_u32_e64 s[4:5], 3, v5
	s_waitcnt lgkmcnt(0)
	s_barrier
	s_and_saveexec_b64 s[20:21], s[14:15]
	s_cbranch_execz .LBB10_29
; %bb.28:
	ds_read_b32 v5, v16 offset:14848
	s_waitcnt lgkmcnt(0)
	s_nop 0
	v_mov_b32_dpp v17, v5 row_shr:1 row_mask:0xf bank_mask:0xf
	v_cndmask_b32_e64 v17, v17, 0, s[6:7]
	v_add_u32_e32 v5, v17, v5
	s_nop 1
	v_mov_b32_dpp v17, v5 row_shr:2 row_mask:0xf bank_mask:0xf
	v_cndmask_b32_e64 v17, 0, v17, s[2:3]
	v_add_u32_e32 v5, v5, v17
	;; [unrolled: 4-line block ×3, first 2 shown]
	ds_write_b32 v16, v5 offset:14848
.LBB10_29:
	s_or_b64 exec, exec, s[20:21]
	v_cmp_lt_u32_e64 s[20:21], 63, v0
	v_mov_b32_e32 v5, 0
	v_mov_b32_e32 v25, 0
	s_waitcnt lgkmcnt(0)
	s_barrier
	s_and_saveexec_b64 s[22:23], s[20:21]
	s_cbranch_execz .LBB10_31
; %bb.30:
	ds_read_b32 v25, v15 offset:14844
.LBB10_31:
	s_or_b64 exec, exec, s[22:23]
	v_add_u32_e32 v17, -1, v23
	v_and_b32_e32 v26, 64, v23
	v_cmp_lt_i32_e64 s[22:23], v17, v26
	v_cndmask_b32_e64 v17, v17, v23, s[22:23]
	v_lshlrev_b32_e32 v17, 2, v17
	s_waitcnt lgkmcnt(0)
	v_add_u32_e32 v24, v25, v24
	ds_bpermute_b32 v24, v17, v24
	ds_read_b32 v26, v5 offset:14876
	v_cmp_eq_u32_e64 s[22:23], 0, v23
	s_mov_b32 s33, 0
	s_mov_b64 s[30:31], 0
	s_waitcnt lgkmcnt(1)
	v_cndmask_b32_e64 v23, v24, v25, s[22:23]
	s_waitcnt lgkmcnt(0)
	v_lshl_add_u32 v24, v26, 16, v23
	v_add_u32_e32 v25, v24, v6
	v_add_u32_e32 v6, v25, v7
	;; [unrolled: 1-line block ×7, first 2 shown]
	ds_write2_b64 v11, v[24:25], v[6:7] offset1:1
	ds_write2_b64 v11, v[8:9], v[2:3] offset0:2 offset1:3
	s_waitcnt lgkmcnt(0)
	s_barrier
	ds_read_u16 v2, v20
	ds_read_u16 v3, v22
	s_waitcnt lgkmcnt(0)
	s_barrier
	v_add_u32_sdwa v2, v2, v19 dst_sel:DWORD dst_unused:UNUSED_PAD src0_sel:DWORD src1_sel:WORD_0
	ds_write_b8 v2, v14
	v_add_u32_sdwa v2, v3, v21 dst_sel:DWORD dst_unused:UNUSED_PAD src0_sel:DWORD src1_sel:WORD_0
	ds_write_b8 v2, v13
	v_sub_u32_e32 v2, v16, v12
	s_waitcnt lgkmcnt(0)
	s_barrier
	ds_read_u16 v12, v2
	v_mov_b32_e32 v2, v16
	s_waitcnt lgkmcnt(0)
	s_barrier
	s_branch .LBB10_33
.LBB10_32:                              ;   in Loop: Header=BB10_33 Depth=1
	s_or_b64 exec, exec, s[26:27]
	s_add_i32 s33, s33, 2
	v_cmp_eq_u32_e64 s[24:25], s33, v18
	s_or_b64 s[30:31], s[24:25], s[30:31]
	v_add_u32_e32 v2, 0xe80, v2
	s_andn2_b64 exec, exec, s[30:31]
	s_cbranch_execz .LBB10_37
.LBB10_33:                              ; =>This Inner Loop Header: Depth=1
	s_or_b32 s24, s33, 1
	v_cmp_le_u32_e64 s[24:25], s24, v1
	v_cmp_le_u32_e64 s[26:27], s33, v10
	s_and_saveexec_b64 s[34:35], s[26:27]
	s_cbranch_execz .LBB10_35
; %bb.34:                               ;   in Loop: Header=BB10_33 Depth=1
	ds_write_b32 v2, v5
.LBB10_35:                              ;   in Loop: Header=BB10_33 Depth=1
	s_or_b64 exec, exec, s[34:35]
	s_and_saveexec_b64 s[26:27], s[24:25]
	s_cbranch_execz .LBB10_32
; %bb.36:                               ;   in Loop: Header=BB10_33 Depth=1
	ds_write_b32 v2, v5 offset:1856
	s_branch .LBB10_32
.LBB10_37:
	s_or_b64 exec, exec, s[30:31]
	v_lshrrev_b16_e32 v1, 4, v12
	v_and_b32_e32 v1, 15, v1
	v_mov_b32_e32 v2, 7
	v_mov_b32_e32 v3, 2
	v_and_b32_sdwa v2, v1, v2 dst_sel:DWORD dst_unused:UNUSED_PAD src0_sel:WORD_0 src1_sel:DWORD
	s_movk_i32 s24, 0x1d0
	v_lshrrev_b32_sdwa v1, v3, v1 dst_sel:DWORD dst_unused:UNUSED_PAD src0_sel:DWORD src1_sel:WORD_0
	v_mad_u32_u24 v2, v2, s24, v0
	v_and_b32_e32 v1, 2, v1
	v_lshl_or_b32 v10, v2, 2, v1
	ds_read_u16 v1, v10
	s_waitcnt lgkmcnt(0)
	v_add_u16_e32 v2, 1, v1
	ds_write_b16 v10, v2
	v_lshrrev_b16_e32 v2, 12, v12
	v_and_b32_e32 v3, 7, v2
	v_lshrrev_b32_e32 v2, 2, v2
	v_mad_u32_u24 v3, v3, s24, v0
	v_and_b32_e32 v2, 2, v2
	v_lshl_or_b32 v14, v3, 2, v2
	ds_read_u16 v13, v14
	s_waitcnt lgkmcnt(0)
	v_add_u16_e32 v2, 1, v13
	ds_write_b16 v14, v2
	s_waitcnt lgkmcnt(0)
	s_barrier
	ds_read2_b64 v[6:9], v11 offset1:1
	ds_read2_b64 v[2:5], v11 offset0:2 offset1:3
	s_waitcnt lgkmcnt(1)
	v_add_u32_e32 v18, v7, v6
	v_add3_u32 v18, v18, v8, v9
	s_waitcnt lgkmcnt(0)
	v_add3_u32 v18, v18, v2, v3
	v_add3_u32 v5, v18, v4, v5
	s_nop 1
	v_mov_b32_dpp v18, v5 row_shr:1 row_mask:0xf bank_mask:0xf
	v_cndmask_b32_e64 v18, v18, 0, s[8:9]
	v_add_u32_e32 v5, v18, v5
	s_nop 1
	v_mov_b32_dpp v18, v5 row_shr:2 row_mask:0xf bank_mask:0xf
	v_cndmask_b32_e64 v18, 0, v18, s[10:11]
	v_add_u32_e32 v5, v5, v18
	;; [unrolled: 4-line block ×4, first 2 shown]
	s_nop 1
	v_mov_b32_dpp v18, v5 row_bcast:15 row_mask:0xf bank_mask:0xf
	v_cndmask_b32_e64 v18, v18, 0, vcc
	v_add_u32_e32 v5, v5, v18
	s_nop 1
	v_mov_b32_dpp v18, v5 row_bcast:31 row_mask:0xf bank_mask:0xf
	v_cndmask_b32_e64 v18, 0, v18, s[18:19]
	v_add_u32_e32 v18, v5, v18
	s_and_saveexec_b64 s[8:9], s[0:1]
	s_cbranch_execz .LBB10_39
; %bb.38:
	ds_write_b32 v15, v18 offset:14848
.LBB10_39:
	s_or_b64 exec, exec, s[8:9]
	s_waitcnt lgkmcnt(0)
	s_barrier
	s_and_saveexec_b64 s[0:1], s[14:15]
	s_cbranch_execz .LBB10_41
; %bb.40:
	ds_read_b32 v5, v16 offset:14848
	s_waitcnt lgkmcnt(0)
	s_nop 0
	v_mov_b32_dpp v19, v5 row_shr:1 row_mask:0xf bank_mask:0xf
	v_cndmask_b32_e64 v19, v19, 0, s[6:7]
	v_add_u32_e32 v5, v19, v5
	s_nop 1
	v_mov_b32_dpp v19, v5 row_shr:2 row_mask:0xf bank_mask:0xf
	v_cndmask_b32_e64 v19, 0, v19, s[2:3]
	v_add_u32_e32 v5, v5, v19
	;; [unrolled: 4-line block ×3, first 2 shown]
	ds_write_b32 v16, v5 offset:14848
.LBB10_41:
	s_or_b64 exec, exec, s[0:1]
	v_lshrrev_b16_e32 v5, 8, v12
	v_mov_b32_e32 v16, 0
	v_mov_b32_e32 v19, 0
	s_waitcnt lgkmcnt(0)
	s_barrier
	s_and_saveexec_b64 s[0:1], s[20:21]
	s_cbranch_execz .LBB10_43
; %bb.42:
	ds_read_b32 v19, v15 offset:14844
.LBB10_43:
	s_or_b64 exec, exec, s[0:1]
	s_waitcnt lgkmcnt(0)
	v_add_u32_e32 v15, v19, v18
	ds_bpermute_b32 v15, v17, v15
	ds_read_b32 v16, v16 offset:14876
	s_waitcnt lgkmcnt(1)
	v_cndmask_b32_e64 v15, v15, v19, s[22:23]
	s_waitcnt lgkmcnt(0)
	v_lshl_add_u32 v16, v16, 16, v15
	v_add_u32_e32 v17, v16, v6
	v_add_u32_e32 v6, v17, v7
	;; [unrolled: 1-line block ×7, first 2 shown]
	ds_write2_b64 v11, v[16:17], v[6:7] offset1:1
	ds_write2_b64 v11, v[8:9], v[2:3] offset0:2 offset1:3
	s_waitcnt lgkmcnt(0)
	s_barrier
	ds_read_u16 v2, v10
	ds_read_u16 v3, v14
	s_waitcnt lgkmcnt(0)
	s_barrier
	v_add_u32_sdwa v1, v2, v1 dst_sel:DWORD dst_unused:UNUSED_PAD src0_sel:DWORD src1_sel:WORD_0
	ds_write_b8 v1, v12
	v_add_u32_sdwa v1, v3, v13 dst_sel:DWORD dst_unused:UNUSED_PAD src0_sel:DWORD src1_sel:WORD_0
	ds_write_b8 v1, v5
	s_waitcnt lgkmcnt(0)
	s_barrier
.LBB10_44:
	ds_read_u8 v1, v0
	ds_read_u8 v2, v0 offset:464
	s_waitcnt lgkmcnt(1)
	v_xor_b32_e32 v1, 0x7f, v1
	s_waitcnt lgkmcnt(0)
	v_xor_b32_e32 v2, 0x7f, v2
	global_store_byte v0, v1, s[28:29]
	global_store_byte v0, v2, s[28:29] offset:464
	s_endpgm
	.section	.rodata,"a",@progbits
	.p2align	6, 0x0
	.amdhsa_kernel _Z15sort_key_kernelILj464ELj2ELb1ELb1EcEvPT3_jj
		.amdhsa_group_segment_fixed_size 14880
		.amdhsa_private_segment_fixed_size 0
		.amdhsa_kernarg_size 16
		.amdhsa_user_sgpr_count 6
		.amdhsa_user_sgpr_private_segment_buffer 1
		.amdhsa_user_sgpr_dispatch_ptr 0
		.amdhsa_user_sgpr_queue_ptr 0
		.amdhsa_user_sgpr_kernarg_segment_ptr 1
		.amdhsa_user_sgpr_dispatch_id 0
		.amdhsa_user_sgpr_flat_scratch_init 0
		.amdhsa_user_sgpr_kernarg_preload_length 0
		.amdhsa_user_sgpr_kernarg_preload_offset 0
		.amdhsa_user_sgpr_private_segment_size 0
		.amdhsa_uses_dynamic_stack 0
		.amdhsa_system_sgpr_private_segment_wavefront_offset 0
		.amdhsa_system_sgpr_workgroup_id_x 1
		.amdhsa_system_sgpr_workgroup_id_y 0
		.amdhsa_system_sgpr_workgroup_id_z 0
		.amdhsa_system_sgpr_workgroup_info 0
		.amdhsa_system_vgpr_workitem_id 0
		.amdhsa_next_free_vgpr 32
		.amdhsa_next_free_sgpr 38
		.amdhsa_accum_offset 32
		.amdhsa_reserve_vcc 1
		.amdhsa_reserve_flat_scratch 0
		.amdhsa_float_round_mode_32 0
		.amdhsa_float_round_mode_16_64 0
		.amdhsa_float_denorm_mode_32 3
		.amdhsa_float_denorm_mode_16_64 3
		.amdhsa_dx10_clamp 1
		.amdhsa_ieee_mode 1
		.amdhsa_fp16_overflow 0
		.amdhsa_tg_split 0
		.amdhsa_exception_fp_ieee_invalid_op 0
		.amdhsa_exception_fp_denorm_src 0
		.amdhsa_exception_fp_ieee_div_zero 0
		.amdhsa_exception_fp_ieee_overflow 0
		.amdhsa_exception_fp_ieee_underflow 0
		.amdhsa_exception_fp_ieee_inexact 0
		.amdhsa_exception_int_div_zero 0
	.end_amdhsa_kernel
	.section	.text._Z15sort_key_kernelILj464ELj2ELb1ELb1EcEvPT3_jj,"axG",@progbits,_Z15sort_key_kernelILj464ELj2ELb1ELb1EcEvPT3_jj,comdat
.Lfunc_end10:
	.size	_Z15sort_key_kernelILj464ELj2ELb1ELb1EcEvPT3_jj, .Lfunc_end10-_Z15sort_key_kernelILj464ELj2ELb1ELb1EcEvPT3_jj
                                        ; -- End function
	.section	.AMDGPU.csdata,"",@progbits
; Kernel info:
; codeLenInByte = 3068
; NumSgprs: 42
; NumVgprs: 32
; NumAgprs: 0
; TotalNumVgprs: 32
; ScratchSize: 0
; MemoryBound: 0
; FloatMode: 240
; IeeeMode: 1
; LDSByteSize: 14880 bytes/workgroup (compile time only)
; SGPRBlocks: 5
; VGPRBlocks: 3
; NumSGPRsForWavesPerEU: 42
; NumVGPRsForWavesPerEU: 32
; AccumOffset: 32
; Occupancy: 8
; WaveLimiterHint : 1
; COMPUTE_PGM_RSRC2:SCRATCH_EN: 0
; COMPUTE_PGM_RSRC2:USER_SGPR: 6
; COMPUTE_PGM_RSRC2:TRAP_HANDLER: 0
; COMPUTE_PGM_RSRC2:TGID_X_EN: 1
; COMPUTE_PGM_RSRC2:TGID_Y_EN: 0
; COMPUTE_PGM_RSRC2:TGID_Z_EN: 0
; COMPUTE_PGM_RSRC2:TIDIG_COMP_CNT: 0
; COMPUTE_PGM_RSRC3_GFX90A:ACCUM_OFFSET: 7
; COMPUTE_PGM_RSRC3_GFX90A:TG_SPLIT: 0
	.section	.text._Z15sort_key_kernelILj33ELj5ELb0ELb0EdEvPT3_jj,"axG",@progbits,_Z15sort_key_kernelILj33ELj5ELb0ELb0EdEvPT3_jj,comdat
	.protected	_Z15sort_key_kernelILj33ELj5ELb0ELb0EdEvPT3_jj ; -- Begin function _Z15sort_key_kernelILj33ELj5ELb0ELb0EdEvPT3_jj
	.globl	_Z15sort_key_kernelILj33ELj5ELb0ELb0EdEvPT3_jj
	.p2align	8
	.type	_Z15sort_key_kernelILj33ELj5ELb0ELb0EdEvPT3_jj,@function
_Z15sort_key_kernelILj33ELj5ELb0ELb0EdEvPT3_jj: ; @_Z15sort_key_kernelILj33ELj5ELb0ELb0EdEvPT3_jj
; %bb.0:
	s_load_dwordx4 s[24:27], s[4:5], 0x0
	s_mul_i32 s0, s6, 0xa5
	s_mov_b32 s1, 0
	s_lshl_b64 s[0:1], s[0:1], 3
	v_mul_u32_u24_e32 v1, 5, v0
	s_waitcnt lgkmcnt(0)
	s_add_u32 s20, s24, s0
	s_addc_u32 s21, s25, s1
	v_lshlrev_b32_e32 v1, 3, v1
	global_load_dwordx4 v[2:5], v1, s[20:21]
	global_load_dwordx4 v[6:9], v1, s[20:21] offset:16
	global_load_dwordx2 v[10:11], v1, s[20:21] offset:32
	v_mbcnt_lo_u32_b32 v12, -1, 0
	s_movk_i32 s4, 0xe7
	v_mov_b32_e32 v13, 0xe7
	v_mbcnt_hi_u32_b32 v12, -1, v12
	v_cmp_gt_u32_e32 vcc, s4, v0
	s_mov_b32 s8, 0x7c1f07d
	v_subb_co_u32_e64 v13, s[4:5], v13, v0, vcc
	v_add_u32_e32 v16, -1, v12
	v_and_b32_e32 v17, 64, v12
	v_mul_hi_u32 v13, v13, s8
	v_cmp_lt_i32_e64 s[18:19], v16, v17
	v_and_b32_e32 v14, 15, v12
	v_and_b32_e32 v15, 16, v12
	v_cmp_lt_u32_e64 s[4:5], 31, v12
	v_cmp_eq_u32_e64 s[6:7], 0, v12
	v_cndmask_b32_e64 v12, v16, v12, s[18:19]
	v_addc_co_u32_e32 v22, vcc, 0, v13, vcc
	s_cmp_eq_u32 s26, 0
	v_lshlrev_b32_e32 v40, 2, v12
	v_mov_b32_e32 v12, s21
	v_add_co_u32_e32 v18, vcc, s20, v1
	s_cselect_b64 s[20:21], -1, 0
	s_cmp_eq_u32 s27, 64
	s_cselect_b64 s[28:29], -1, 0
	v_addc_co_u32_e32 v19, vcc, 0, v12, vcc
	s_and_b64 s[20:21], s[20:21], s[28:29]
	v_bfrev_b32_e32 v27, 1
	s_and_b64 vcc, exec, s[20:21]
	v_cmp_eq_u32_e64 s[16:17], 0, v15
	s_movk_i32 s0, 0x108
	v_cmp_eq_u32_e64 s[8:9], 0, v14
	v_cmp_lt_u32_e64 s[10:11], 1, v14
	v_cmp_lt_u32_e64 s[12:13], 3, v14
	;; [unrolled: 1-line block ×3, first 2 shown]
	s_mov_b64 s[22:23], -1
	s_mov_b32 s24, -1
	v_cmp_gt_u32_e64 s[0:1], s0, v0
	v_lshlrev_b32_e32 v21, 3, v0
	v_lshlrev_b32_e32 v23, 5, v0
	v_cmp_eq_u32_e64 s[2:3], 32, v0
	v_lshlrev_b32_e32 v20, 2, v0
	v_lshrrev_b32_e32 v41, 1, v22
	v_cmp_lt_u32_e64 s[18:19], 5, v22
	s_waitcnt vmcnt(2)
	v_cmp_lt_i64_e64 s[20:21], -1, v[2:3]
	v_cndmask_b32_e64 v1, -1, v27, s[20:21]
	v_cmp_lt_i64_e64 s[20:21], -1, v[4:5]
	v_cndmask_b32_e64 v13, -1, v27, s[20:21]
	s_waitcnt vmcnt(1)
	v_cmp_lt_i64_e64 s[20:21], -1, v[6:7]
	v_cndmask_b32_e64 v15, -1, v27, s[20:21]
	v_cmp_lt_i64_e64 s[20:21], -1, v[8:9]
	v_cndmask_b32_e64 v17, -1, v27, s[20:21]
	s_waitcnt vmcnt(0)
	v_cmp_lt_i64_e64 s[20:21], -1, v[10:11]
	v_ashrrev_i32_e32 v12, 31, v3
	v_ashrrev_i32_e32 v14, 31, v5
	;; [unrolled: 1-line block ×4, first 2 shown]
	v_cndmask_b32_e64 v25, -1, v27, s[20:21]
	v_ashrrev_i32_e32 v26, 31, v11
	v_xor_b32_e32 v3, v1, v3
	v_xor_b32_e32 v2, v12, v2
	v_xor_b32_e32 v5, v13, v5
	v_xor_b32_e32 v4, v14, v4
	v_xor_b32_e32 v7, v15, v7
	v_xor_b32_e32 v6, v16, v6
	v_xor_b32_e32 v9, v17, v9
	v_xor_b32_e32 v8, v24, v8
	v_xor_b32_e32 v25, v25, v11
	v_xor_b32_e32 v24, v26, v10
	s_cbranch_vccnz .LBB11_36
; %bb.1:
	v_add_u32_e32 v10, 1, v41
	v_and_b32_e32 v11, 3, v10
	v_mov_b32_e32 v1, v22
	v_and_b32_e32 v42, 12, v10
	v_cmp_ne_u32_e64 s[20:21], 0, v11
	v_lshlrev_b32_e32 v26, 2, v0
	s_movk_i32 s33, 0x84
	v_mul_u32_u24_e32 v43, 0x84, v11
	v_mov_b32_e32 v44, 0
	s_brev_b32 s25, -2
	v_mov_b32_e32 v45, 3
	v_pk_mov_b32 v[10:11], v[2:3], v[2:3] op_sel:[0,1]
	v_pk_mov_b32 v[12:13], v[4:5], v[4:5] op_sel:[0,1]
	v_pk_mov_b32 v[14:15], v[6:7], v[6:7] op_sel:[0,1]
	v_pk_mov_b32 v[16:17], v[8:9], v[8:9] op_sel:[0,1]
	v_pk_mov_b32 v[38:39], v[24:25], v[24:25] op_sel:[0,1]
	s_branch .LBB11_3
.LBB11_2:                               ;   in Loop: Header=BB11_3 Depth=1
	v_add_u32_e32 v38, v23, v21
	; wave barrier
	ds_write_b64 v47, v[36:37]
	ds_write_b64 v46, v[34:35]
	;; [unrolled: 1-line block ×5, first 2 shown]
	s_waitcnt lgkmcnt(0)
	; wave barrier
	s_waitcnt lgkmcnt(0)
	ds_read2_b64 v[10:13], v38 offset1:1
	ds_read2_b64 v[14:17], v38 offset0:2 offset1:3
	ds_read_b64 v[38:39], v38 offset:32
	s_waitcnt lgkmcnt(0)
	; wave barrier
	s_waitcnt lgkmcnt(0)
	s_cbranch_execz .LBB11_35
.LBB11_3:                               ; =>This Loop Header: Depth=1
                                        ;     Child Loop BB11_7 Depth 2
                                        ;     Child Loop BB11_27 Depth 2
	v_pk_mov_b32 v[28:29], v[38:39], v[38:39] op_sel:[0,1]
	v_pk_mov_b32 v[30:31], v[16:17], v[16:17] op_sel:[0,1]
	;; [unrolled: 1-line block ×5, first 2 shown]
	s_and_saveexec_b64 s[28:29], s[0:1]
	s_cbranch_execz .LBB11_31
; %bb.4:                                ;   in Loop: Header=BB11_3 Depth=1
	v_mov_b32_e32 v12, 0
	s_and_saveexec_b64 s[30:31], s[18:19]
	s_cbranch_execz .LBB11_24
; %bb.5:                                ;   in Loop: Header=BB11_3 Depth=1
	s_mov_b32 s38, 0
	s_mov_b64 s[34:35], 0
	v_mov_b32_e32 v10, v42
	v_mov_b32_e32 v11, v26
	s_branch .LBB11_7
.LBB11_6:                               ;   in Loop: Header=BB11_7 Depth=2
	s_or_b64 exec, exec, s[22:23]
	v_add_u32_e32 v10, -4, v10
	s_add_i32 s22, s38, 8
	v_cmp_eq_u32_e32 vcc, 0, v10
	s_add_i32 s38, s39, 2
	v_add_u32_e32 v11, 0x420, v11
	s_or_b64 s[34:35], vcc, s[34:35]
	v_mov_b32_e32 v12, s22
	s_andn2_b64 exec, exec, s[34:35]
	s_cbranch_execz .LBB11_23
.LBB11_7:                               ;   Parent Loop BB11_3 Depth=1
                                        ; =>  This Inner Loop Header: Depth=2
	s_or_b32 s22, s38, 1
	v_cmp_le_u32_e32 vcc, s22, v1
	v_cmp_le_u32_e64 s[22:23], s38, v22
	s_and_saveexec_b64 s[36:37], s[22:23]
	s_cbranch_execz .LBB11_9
; %bb.8:                                ;   in Loop: Header=BB11_7 Depth=2
	ds_write_b32 v11, v44
.LBB11_9:                               ;   in Loop: Header=BB11_7 Depth=2
	s_or_b64 exec, exec, s[36:37]
	s_and_saveexec_b64 s[22:23], vcc
	s_cbranch_execz .LBB11_11
; %bb.10:                               ;   in Loop: Header=BB11_7 Depth=2
	ds_write_b32 v11, v44 offset:132
.LBB11_11:                              ;   in Loop: Header=BB11_7 Depth=2
	s_or_b64 exec, exec, s[22:23]
	s_add_i32 s39, s38, 2
	s_add_i32 s22, s38, 3
	v_cmp_le_u32_e32 vcc, s22, v1
	v_cmp_le_u32_e64 s[22:23], s39, v22
	s_and_saveexec_b64 s[36:37], s[22:23]
	s_cbranch_execz .LBB11_13
; %bb.12:                               ;   in Loop: Header=BB11_7 Depth=2
	ds_write_b32 v11, v44 offset:264
.LBB11_13:                              ;   in Loop: Header=BB11_7 Depth=2
	s_or_b64 exec, exec, s[36:37]
	s_and_saveexec_b64 s[22:23], vcc
	s_cbranch_execz .LBB11_15
; %bb.14:                               ;   in Loop: Header=BB11_7 Depth=2
	ds_write_b32 v11, v44 offset:396
.LBB11_15:                              ;   in Loop: Header=BB11_7 Depth=2
	s_or_b64 exec, exec, s[22:23]
	s_add_i32 s40, s39, 2
	s_add_i32 s39, s39, 3
	v_cmp_le_u32_e32 vcc, s39, v1
	v_cmp_le_u32_e64 s[22:23], s40, v22
	s_and_saveexec_b64 s[36:37], s[22:23]
	s_cbranch_execz .LBB11_17
; %bb.16:                               ;   in Loop: Header=BB11_7 Depth=2
	ds_write_b32 v11, v44 offset:528
.LBB11_17:                              ;   in Loop: Header=BB11_7 Depth=2
	;; [unrolled: 16-line block ×3, first 2 shown]
	s_or_b64 exec, exec, s[36:37]
	s_and_saveexec_b64 s[22:23], vcc
	s_cbranch_execz .LBB11_6
; %bb.22:                               ;   in Loop: Header=BB11_7 Depth=2
	ds_write_b32 v11, v44 offset:924
	s_branch .LBB11_6
.LBB11_23:                              ;   in Loop: Header=BB11_3 Depth=1
	s_or_b64 exec, exec, s[34:35]
.LBB11_24:                              ;   in Loop: Header=BB11_3 Depth=1
	s_or_b64 exec, exec, s[30:31]
	s_and_b64 exec, exec, s[20:21]
	s_cbranch_execz .LBB11_31
; %bb.25:                               ;   in Loop: Header=BB11_3 Depth=1
	v_mad_u64_u32 v[10:11], s[22:23], v12, s33, v[26:27]
	s_mov_b64 s[30:31], 0
	v_mov_b32_e32 v11, v43
	s_branch .LBB11_27
.LBB11_26:                              ;   in Loop: Header=BB11_27 Depth=2
	s_or_b64 exec, exec, s[22:23]
	v_add_u32_e32 v11, 0xffffff7c, v11
	v_cmp_eq_u32_e32 vcc, 0, v11
	v_add_u32_e32 v12, 2, v12
	s_or_b64 s[30:31], vcc, s[30:31]
	v_add_u32_e32 v10, 0x108, v10
	s_andn2_b64 exec, exec, s[30:31]
	s_cbranch_execz .LBB11_31
.LBB11_27:                              ;   Parent Loop BB11_3 Depth=1
                                        ; =>  This Inner Loop Header: Depth=2
	v_or_b32_e32 v13, 1, v12
	v_cmp_le_u32_e32 vcc, v13, v1
	v_cmp_le_u32_e64 s[22:23], v12, v22
	s_and_saveexec_b64 s[34:35], s[22:23]
	s_cbranch_execz .LBB11_29
; %bb.28:                               ;   in Loop: Header=BB11_27 Depth=2
	ds_write_b32 v10, v44
.LBB11_29:                              ;   in Loop: Header=BB11_27 Depth=2
	s_or_b64 exec, exec, s[34:35]
	s_and_saveexec_b64 s[22:23], vcc
	s_cbranch_execz .LBB11_26
; %bb.30:                               ;   in Loop: Header=BB11_27 Depth=2
	ds_write_b32 v10, v44 offset:132
	s_branch .LBB11_26
.LBB11_31:                              ;   in Loop: Header=BB11_3 Depth=1
	s_or_b64 exec, exec, s[28:29]
	s_sub_i32 s22, s27, s26
	s_min_u32 s22, s22, 4
	v_cmp_ne_u64_e32 vcc, s[24:25], v[36:37]
	s_lshl_b32 s22, -1, s22
	v_cndmask_b32_e32 v11, v27, v37, vcc
	v_cndmask_b32_e32 v10, 0, v36, vcc
	s_not_b32 s22, s22
	v_lshrrev_b64 v[10:11], s26, v[10:11]
	v_and_b32_e32 v10, s22, v10
	v_and_b32_e32 v11, 7, v10
	v_mul_u32_u24_e32 v11, 33, v11
	v_lshrrev_b32_e32 v10, 3, v10
	v_add_lshl_u32 v11, v11, v0, 1
	v_add_lshl_u32 v39, v11, v10, 1
	ds_read_u16 v38, v39
	v_cmp_ne_u64_e32 vcc, s[24:25], v[34:35]
	v_cndmask_b32_e32 v11, v27, v35, vcc
	s_waitcnt lgkmcnt(0)
	v_add_u16_e32 v10, 1, v38
	ds_write_b16 v39, v10
	v_cndmask_b32_e32 v10, 0, v34, vcc
	v_lshrrev_b64 v[10:11], s26, v[10:11]
	v_and_b32_e32 v10, s22, v10
	v_and_b32_e32 v11, 7, v10
	v_mul_u32_u24_e32 v11, 33, v11
	v_lshrrev_b32_e32 v10, 3, v10
	v_add_lshl_u32 v11, v11, v0, 1
	v_add_lshl_u32 v47, v11, v10, 1
	ds_read_u16 v46, v47
	v_cmp_ne_u64_e32 vcc, s[24:25], v[32:33]
	v_cndmask_b32_e32 v11, v27, v33, vcc
	s_waitcnt lgkmcnt(0)
	v_add_u16_e32 v10, 1, v46
	ds_write_b16 v47, v10
	v_cndmask_b32_e32 v10, 0, v32, vcc
	;; [unrolled: 14-line block ×4, first 2 shown]
	v_lshrrev_b64 v[10:11], s26, v[10:11]
	v_and_b32_e32 v10, s22, v10
	v_and_b32_e32 v11, 7, v10
	v_mul_u32_u24_e32 v11, 33, v11
	v_lshrrev_b32_e32 v10, 3, v10
	v_add_lshl_u32 v11, v11, v0, 1
	v_add_lshl_u32 v53, v11, v10, 1
	ds_read_u16 v52, v53
	s_waitcnt lgkmcnt(0)
	v_add_u16_e32 v10, 1, v52
	ds_write_b16 v53, v10
	s_waitcnt lgkmcnt(0)
	; wave barrier
	s_waitcnt lgkmcnt(0)
	ds_read2_b64 v[14:17], v23 offset1:1
	ds_read2_b64 v[10:13], v23 offset0:2 offset1:3
	s_waitcnt lgkmcnt(1)
	v_add_u32_e32 v54, v15, v14
	v_add3_u32 v54, v54, v16, v17
	s_waitcnt lgkmcnt(0)
	v_add3_u32 v54, v54, v10, v11
	v_add3_u32 v13, v54, v12, v13
	s_nop 1
	v_mov_b32_dpp v54, v13 row_shr:1 row_mask:0xf bank_mask:0xf
	v_cndmask_b32_e64 v54, v54, 0, s[8:9]
	v_add_u32_e32 v13, v54, v13
	s_nop 1
	v_mov_b32_dpp v54, v13 row_shr:2 row_mask:0xf bank_mask:0xf
	v_cndmask_b32_e64 v54, 0, v54, s[10:11]
	v_add_u32_e32 v13, v13, v54
	;; [unrolled: 4-line block ×4, first 2 shown]
	s_nop 1
	v_mov_b32_dpp v54, v13 row_bcast:15 row_mask:0xf bank_mask:0xf
	v_cndmask_b32_e64 v54, v54, 0, s[16:17]
	v_add_u32_e32 v13, v13, v54
	s_nop 1
	v_mov_b32_dpp v54, v13 row_bcast:31 row_mask:0xf bank_mask:0xf
	v_cndmask_b32_e64 v54, 0, v54, s[4:5]
	v_add_u32_e32 v13, v13, v54
	s_and_saveexec_b64 s[22:23], s[2:3]
	s_cbranch_execz .LBB11_33
; %bb.32:                               ;   in Loop: Header=BB11_3 Depth=1
	ds_write_b32 v44, v13 offset:1056
.LBB11_33:                              ;   in Loop: Header=BB11_3 Depth=1
	s_or_b64 exec, exec, s[22:23]
	ds_bpermute_b32 v13, v40, v13
	s_waitcnt lgkmcnt(0)
	; wave barrier
	s_waitcnt lgkmcnt(0)
	ds_read_b32 v54, v44 offset:1056
	s_add_i32 s26, s26, 4
	v_cndmask_b32_e64 v13, v13, 0, s[6:7]
	s_cmp_ge_u32 s26, s27
	s_waitcnt lgkmcnt(0)
	v_lshl_add_u32 v54, v54, 16, v13
	v_add_u32_e32 v55, v54, v14
	v_add_u32_e32 v14, v55, v15
	;; [unrolled: 1-line block ×7, first 2 shown]
	ds_write2_b64 v23, v[54:55], v[14:15] offset1:1
	ds_write2_b64 v23, v[16:17], v[10:11] offset0:2 offset1:3
	s_waitcnt lgkmcnt(0)
	; wave barrier
	s_waitcnt lgkmcnt(0)
	ds_read_u16 v10, v39
	ds_read_u16 v11, v47
	;; [unrolled: 1-line block ×5, first 2 shown]
	v_lshlrev_b32_sdwa v15, v45, v38 dst_sel:DWORD dst_unused:UNUSED_PAD src0_sel:DWORD src1_sel:WORD_0
	s_waitcnt lgkmcnt(4)
	v_lshl_add_u32 v47, v10, 3, v15
	v_lshlrev_b32_sdwa v10, v45, v46 dst_sel:DWORD dst_unused:UNUSED_PAD src0_sel:DWORD src1_sel:WORD_0
	s_waitcnt lgkmcnt(3)
	v_lshl_add_u32 v46, v11, 3, v10
	;; [unrolled: 3-line block ×5, first 2 shown]
	s_cbranch_scc0 .LBB11_2
; %bb.34:
                                        ; implicit-def: $vgpr38_vgpr39
                                        ; implicit-def: $vgpr16_vgpr17
                                        ; implicit-def: $vgpr12_vgpr13
.LBB11_35:
	s_mov_b64 s[22:23], 0
	; wave barrier
	ds_write_b64 v47, v[36:37]
	ds_write_b64 v46, v[34:35]
	;; [unrolled: 1-line block ×5, first 2 shown]
	s_waitcnt lgkmcnt(0)
	; wave barrier
.LBB11_36:
	s_and_b64 vcc, exec, s[22:23]
	s_cbranch_vccz .LBB11_72
; %bb.37:
	v_add_u32_e32 v10, 1, v41
	v_and_b32_e32 v11, 3, v10
	s_mov_b32 s24, -1
	v_mov_b32_e32 v1, v22
	v_cmp_lt_u32_e64 s[18:19], 5, v22
	v_and_b32_e32 v28, 12, v10
	s_mov_b32 s33, 0
	v_cmp_ne_u32_e64 s[20:21], 0, v11
	s_movk_i32 s36, 0x84
	v_mul_u32_u24_e32 v29, 0x84, v11
	v_mov_b32_e32 v30, 0
	s_brev_b32 s25, -2
	v_bfrev_b32_e32 v31, 1
	s_branch .LBB11_39
.LBB11_38:                              ;   in Loop: Header=BB11_39 Depth=1
	v_lshlrev_b32_e32 v2, 3, v37
	s_waitcnt lgkmcnt(0)
	; wave barrier
	ds_write_b64 v2, v[26:27]
	v_lshlrev_b32_e32 v2, 3, v35
	ds_write_b64 v2, v[16:17]
	v_lshlrev_b32_e32 v2, 3, v33
	;; [unrolled: 2-line block ×4, first 2 shown]
	v_add_u32_e32 v24, v23, v21
	ds_write_b64 v2, v[10:11]
	s_waitcnt lgkmcnt(0)
	; wave barrier
	s_waitcnt lgkmcnt(0)
	ds_read2_b64 v[2:5], v24 offset1:1
	ds_read2_b64 v[6:9], v24 offset0:2 offset1:3
	ds_read_b64 v[24:25], v24 offset:32
	s_add_i32 s33, s33, 4
	s_waitcnt lgkmcnt(0)
	; wave barrier
	s_waitcnt lgkmcnt(0)
	s_cbranch_execz .LBB11_71
.LBB11_39:                              ; =>This Loop Header: Depth=1
                                        ;     Child Loop BB11_43 Depth 2
                                        ;     Child Loop BB11_63 Depth 2
	v_pk_mov_b32 v[10:11], v[24:25], v[24:25] op_sel:[0,1]
	v_pk_mov_b32 v[12:13], v[8:9], v[8:9] op_sel:[0,1]
	;; [unrolled: 1-line block ×5, first 2 shown]
	s_and_saveexec_b64 s[26:27], s[0:1]
	s_cbranch_execz .LBB11_67
; %bb.40:                               ;   in Loop: Header=BB11_39 Depth=1
	v_mov_b32_e32 v4, 0
	s_and_saveexec_b64 s[28:29], s[18:19]
	s_cbranch_execz .LBB11_60
; %bb.41:                               ;   in Loop: Header=BB11_39 Depth=1
	s_mov_b32 s37, 0
	s_mov_b64 s[30:31], 0
	v_mov_b32_e32 v2, v28
	v_mov_b32_e32 v3, v20
	s_branch .LBB11_43
.LBB11_42:                              ;   in Loop: Header=BB11_43 Depth=2
	s_or_b64 exec, exec, s[22:23]
	v_add_u32_e32 v2, -4, v2
	s_add_i32 s22, s37, 8
	v_cmp_eq_u32_e32 vcc, 0, v2
	s_add_i32 s37, s38, 2
	v_add_u32_e32 v3, 0x420, v3
	s_or_b64 s[30:31], vcc, s[30:31]
	v_mov_b32_e32 v4, s22
	s_andn2_b64 exec, exec, s[30:31]
	s_cbranch_execz .LBB11_59
.LBB11_43:                              ;   Parent Loop BB11_39 Depth=1
                                        ; =>  This Inner Loop Header: Depth=2
	s_or_b32 s22, s37, 1
	v_cmp_le_u32_e32 vcc, s22, v1
	v_cmp_le_u32_e64 s[22:23], s37, v22
	s_and_saveexec_b64 s[34:35], s[22:23]
	s_cbranch_execz .LBB11_45
; %bb.44:                               ;   in Loop: Header=BB11_43 Depth=2
	ds_write_b32 v3, v30
.LBB11_45:                              ;   in Loop: Header=BB11_43 Depth=2
	s_or_b64 exec, exec, s[34:35]
	s_and_saveexec_b64 s[22:23], vcc
	s_cbranch_execz .LBB11_47
; %bb.46:                               ;   in Loop: Header=BB11_43 Depth=2
	ds_write_b32 v3, v30 offset:132
.LBB11_47:                              ;   in Loop: Header=BB11_43 Depth=2
	s_or_b64 exec, exec, s[22:23]
	s_add_i32 s38, s37, 2
	s_add_i32 s22, s37, 3
	v_cmp_le_u32_e32 vcc, s22, v1
	v_cmp_le_u32_e64 s[22:23], s38, v22
	s_and_saveexec_b64 s[34:35], s[22:23]
	s_cbranch_execz .LBB11_49
; %bb.48:                               ;   in Loop: Header=BB11_43 Depth=2
	ds_write_b32 v3, v30 offset:264
.LBB11_49:                              ;   in Loop: Header=BB11_43 Depth=2
	s_or_b64 exec, exec, s[34:35]
	s_and_saveexec_b64 s[22:23], vcc
	s_cbranch_execz .LBB11_51
; %bb.50:                               ;   in Loop: Header=BB11_43 Depth=2
	ds_write_b32 v3, v30 offset:396
.LBB11_51:                              ;   in Loop: Header=BB11_43 Depth=2
	s_or_b64 exec, exec, s[22:23]
	s_add_i32 s39, s38, 2
	s_add_i32 s38, s38, 3
	v_cmp_le_u32_e32 vcc, s38, v1
	v_cmp_le_u32_e64 s[22:23], s39, v22
	s_and_saveexec_b64 s[34:35], s[22:23]
	s_cbranch_execz .LBB11_53
; %bb.52:                               ;   in Loop: Header=BB11_43 Depth=2
	ds_write_b32 v3, v30 offset:528
.LBB11_53:                              ;   in Loop: Header=BB11_43 Depth=2
	;; [unrolled: 16-line block ×3, first 2 shown]
	s_or_b64 exec, exec, s[34:35]
	s_and_saveexec_b64 s[22:23], vcc
	s_cbranch_execz .LBB11_42
; %bb.58:                               ;   in Loop: Header=BB11_43 Depth=2
	ds_write_b32 v3, v30 offset:924
	s_branch .LBB11_42
.LBB11_59:                              ;   in Loop: Header=BB11_39 Depth=1
	s_or_b64 exec, exec, s[30:31]
.LBB11_60:                              ;   in Loop: Header=BB11_39 Depth=1
	s_or_b64 exec, exec, s[28:29]
	s_and_b64 exec, exec, s[20:21]
	s_cbranch_execz .LBB11_67
; %bb.61:                               ;   in Loop: Header=BB11_39 Depth=1
	v_mad_u64_u32 v[2:3], s[22:23], v4, s36, v[20:21]
	s_mov_b64 s[28:29], 0
	v_mov_b32_e32 v3, v29
	s_branch .LBB11_63
.LBB11_62:                              ;   in Loop: Header=BB11_63 Depth=2
	s_or_b64 exec, exec, s[22:23]
	v_add_u32_e32 v3, 0xffffff7c, v3
	v_cmp_eq_u32_e32 vcc, 0, v3
	v_add_u32_e32 v4, 2, v4
	s_or_b64 s[28:29], vcc, s[28:29]
	v_add_u32_e32 v2, 0x108, v2
	s_andn2_b64 exec, exec, s[28:29]
	s_cbranch_execz .LBB11_67
.LBB11_63:                              ;   Parent Loop BB11_39 Depth=1
                                        ; =>  This Inner Loop Header: Depth=2
	v_or_b32_e32 v5, 1, v4
	v_cmp_le_u32_e32 vcc, v5, v1
	v_cmp_le_u32_e64 s[22:23], v4, v22
	s_and_saveexec_b64 s[30:31], s[22:23]
	s_cbranch_execz .LBB11_65
; %bb.64:                               ;   in Loop: Header=BB11_63 Depth=2
	ds_write_b32 v2, v30
.LBB11_65:                              ;   in Loop: Header=BB11_63 Depth=2
	s_or_b64 exec, exec, s[30:31]
	s_and_saveexec_b64 s[22:23], vcc
	s_cbranch_execz .LBB11_62
; %bb.66:                               ;   in Loop: Header=BB11_63 Depth=2
	ds_write_b32 v2, v30 offset:132
	s_branch .LBB11_62
.LBB11_67:                              ;   in Loop: Header=BB11_39 Depth=1
	s_or_b64 exec, exec, s[26:27]
	v_cmp_ne_u64_e32 vcc, s[24:25], v[26:27]
	v_cndmask_b32_e32 v3, v31, v27, vcc
	v_cndmask_b32_e32 v2, 0, v26, vcc
	v_lshrrev_b64 v[2:3], s33, v[2:3]
	v_and_b32_e32 v3, 7, v2
	v_lshrrev_b32_e32 v2, 2, v2
	v_mad_u32_u24 v3, v3, 33, v0
	v_and_b32_e32 v2, 2, v2
	v_lshl_or_b32 v25, v3, 2, v2
	ds_read_u16 v24, v25
	v_cmp_ne_u64_e32 vcc, s[24:25], v[16:17]
	v_cndmask_b32_e32 v3, v31, v17, vcc
	s_waitcnt lgkmcnt(0)
	v_add_u16_e32 v2, 1, v24
	ds_write_b16 v25, v2
	v_cndmask_b32_e32 v2, 0, v16, vcc
	v_lshrrev_b64 v[2:3], s33, v[2:3]
	v_and_b32_e32 v3, 7, v2
	v_lshrrev_b32_e32 v2, 2, v2
	v_mad_u32_u24 v3, v3, 33, v0
	v_and_b32_e32 v2, 2, v2
	v_lshl_or_b32 v33, v3, 2, v2
	ds_read_u16 v32, v33
	v_cmp_ne_u64_e32 vcc, s[24:25], v[14:15]
	v_cndmask_b32_e32 v3, v31, v15, vcc
	s_waitcnt lgkmcnt(0)
	v_add_u16_e32 v2, 1, v32
	ds_write_b16 v33, v2
	;; [unrolled: 13-line block ×4, first 2 shown]
	v_cndmask_b32_e32 v2, 0, v10, vcc
	v_lshrrev_b64 v[2:3], s33, v[2:3]
	v_and_b32_e32 v3, 7, v2
	v_lshrrev_b32_e32 v2, 2, v2
	v_mad_u32_u24 v3, v3, 33, v0
	v_and_b32_e32 v2, 2, v2
	v_lshl_or_b32 v39, v3, 2, v2
	ds_read_u16 v38, v39
	s_waitcnt lgkmcnt(0)
	v_add_u16_e32 v2, 1, v38
	ds_write_b16 v39, v2
	s_waitcnt lgkmcnt(0)
	; wave barrier
	s_waitcnt lgkmcnt(0)
	ds_read2_b64 v[6:9], v23 offset1:1
	ds_read2_b64 v[2:5], v23 offset0:2 offset1:3
	s_waitcnt lgkmcnt(1)
	v_add_u32_e32 v41, v7, v6
	v_add3_u32 v41, v41, v8, v9
	s_waitcnt lgkmcnt(0)
	v_add3_u32 v41, v41, v2, v3
	v_add3_u32 v5, v41, v4, v5
	s_nop 1
	v_mov_b32_dpp v41, v5 row_shr:1 row_mask:0xf bank_mask:0xf
	v_cndmask_b32_e64 v41, v41, 0, s[8:9]
	v_add_u32_e32 v5, v41, v5
	s_nop 1
	v_mov_b32_dpp v41, v5 row_shr:2 row_mask:0xf bank_mask:0xf
	v_cndmask_b32_e64 v41, 0, v41, s[10:11]
	v_add_u32_e32 v5, v5, v41
	;; [unrolled: 4-line block ×4, first 2 shown]
	s_nop 1
	v_mov_b32_dpp v41, v5 row_bcast:15 row_mask:0xf bank_mask:0xf
	v_cndmask_b32_e64 v41, v41, 0, s[16:17]
	v_add_u32_e32 v5, v5, v41
	s_nop 1
	v_mov_b32_dpp v41, v5 row_bcast:31 row_mask:0xf bank_mask:0xf
	v_cndmask_b32_e64 v41, 0, v41, s[4:5]
	v_add_u32_e32 v5, v5, v41
	s_and_saveexec_b64 s[22:23], s[2:3]
	s_cbranch_execz .LBB11_69
; %bb.68:                               ;   in Loop: Header=BB11_39 Depth=1
	ds_write_b32 v30, v5 offset:1056
.LBB11_69:                              ;   in Loop: Header=BB11_39 Depth=1
	s_or_b64 exec, exec, s[22:23]
	ds_bpermute_b32 v5, v40, v5
	s_waitcnt lgkmcnt(0)
	; wave barrier
	s_waitcnt lgkmcnt(0)
	ds_read_b32 v41, v30 offset:1056
	s_cmp_gt_u32 s33, 59
	v_cndmask_b32_e64 v5, v5, 0, s[6:7]
	s_waitcnt lgkmcnt(0)
	v_lshl_add_u32 v42, v41, 16, v5
	v_add_u32_e32 v43, v42, v6
	v_add_u32_e32 v6, v43, v7
	;; [unrolled: 1-line block ×7, first 2 shown]
	ds_write2_b64 v23, v[42:43], v[6:7] offset1:1
	ds_write2_b64 v23, v[8:9], v[2:3] offset0:2 offset1:3
	s_waitcnt lgkmcnt(0)
	; wave barrier
	s_waitcnt lgkmcnt(0)
	ds_read_u16 v2, v25
	ds_read_u16 v3, v33
	;; [unrolled: 1-line block ×5, first 2 shown]
	s_waitcnt lgkmcnt(4)
	v_add_u32_sdwa v37, v2, v24 dst_sel:DWORD dst_unused:UNUSED_PAD src0_sel:DWORD src1_sel:WORD_0
	s_waitcnt lgkmcnt(3)
	v_add_u32_sdwa v35, v3, v32 dst_sel:DWORD dst_unused:UNUSED_PAD src0_sel:DWORD src1_sel:WORD_0
	;; [unrolled: 2-line block ×5, first 2 shown]
	s_cbranch_scc0 .LBB11_38
; %bb.70:
                                        ; implicit-def: $vgpr24_vgpr25
                                        ; implicit-def: $vgpr8_vgpr9
                                        ; implicit-def: $vgpr4_vgpr5
                                        ; implicit-def: $sgpr33
.LBB11_71:
	v_lshlrev_b32_e32 v0, 3, v37
	s_waitcnt lgkmcnt(0)
	; wave barrier
	ds_write_b64 v0, v[26:27]
	v_lshlrev_b32_e32 v0, 3, v35
	ds_write_b64 v0, v[16:17]
	v_lshlrev_b32_e32 v0, 3, v33
	;; [unrolled: 2-line block ×4, first 2 shown]
	ds_write_b64 v0, v[10:11]
	s_waitcnt lgkmcnt(0)
	; wave barrier
.LBB11_72:
	v_add_u32_e32 v8, v23, v21
	s_waitcnt lgkmcnt(0)
	ds_read2_b64 v[0:3], v8 offset1:1
	ds_read2_b64 v[4:7], v8 offset0:2 offset1:3
	ds_read_b64 v[8:9], v8 offset:32
	v_bfrev_b32_e32 v10, 1
	s_waitcnt lgkmcnt(2)
	v_ashrrev_i32_e32 v12, 31, v1
	v_cmp_lt_i64_e32 vcc, -1, v[0:1]
	v_not_b32_e32 v12, v12
	v_cndmask_b32_e64 v11, v10, -1, vcc
	v_xor_b32_e32 v0, v12, v0
	v_cmp_lt_i64_e32 vcc, -1, v[2:3]
	v_ashrrev_i32_e32 v12, 31, v3
	v_xor_b32_e32 v1, v11, v1
	v_cndmask_b32_e64 v11, v10, -1, vcc
	v_not_b32_e32 v12, v12
	s_waitcnt lgkmcnt(1)
	v_cmp_lt_i64_e32 vcc, -1, v[4:5]
	v_xor_b32_e32 v3, v11, v3
	v_xor_b32_e32 v2, v12, v2
	v_cndmask_b32_e64 v11, v10, -1, vcc
	v_ashrrev_i32_e32 v12, 31, v5
	v_cmp_lt_i64_e32 vcc, -1, v[6:7]
	v_not_b32_e32 v12, v12
	v_xor_b32_e32 v5, v11, v5
	v_cndmask_b32_e64 v11, v10, -1, vcc
	v_xor_b32_e32 v4, v12, v4
	v_ashrrev_i32_e32 v12, 31, v7
	v_xor_b32_e32 v7, v11, v7
	s_waitcnt lgkmcnt(0)
	v_cmp_lt_i64_e32 vcc, -1, v[8:9]
	v_ashrrev_i32_e32 v11, 31, v9
	v_not_b32_e32 v12, v12
	v_cndmask_b32_e64 v10, v10, -1, vcc
	v_not_b32_e32 v11, v11
	v_xor_b32_e32 v6, v12, v6
	v_xor_b32_e32 v9, v10, v9
	;; [unrolled: 1-line block ×3, first 2 shown]
	global_store_dwordx4 v[18:19], v[0:3], off
	global_store_dwordx4 v[18:19], v[4:7], off offset:16
	global_store_dwordx2 v[18:19], v[8:9], off offset:32
	s_endpgm
	.section	.rodata,"a",@progbits
	.p2align	6, 0x0
	.amdhsa_kernel _Z15sort_key_kernelILj33ELj5ELb0ELb0EdEvPT3_jj
		.amdhsa_group_segment_fixed_size 1328
		.amdhsa_private_segment_fixed_size 0
		.amdhsa_kernarg_size 16
		.amdhsa_user_sgpr_count 6
		.amdhsa_user_sgpr_private_segment_buffer 1
		.amdhsa_user_sgpr_dispatch_ptr 0
		.amdhsa_user_sgpr_queue_ptr 0
		.amdhsa_user_sgpr_kernarg_segment_ptr 1
		.amdhsa_user_sgpr_dispatch_id 0
		.amdhsa_user_sgpr_flat_scratch_init 0
		.amdhsa_user_sgpr_kernarg_preload_length 0
		.amdhsa_user_sgpr_kernarg_preload_offset 0
		.amdhsa_user_sgpr_private_segment_size 0
		.amdhsa_uses_dynamic_stack 0
		.amdhsa_system_sgpr_private_segment_wavefront_offset 0
		.amdhsa_system_sgpr_workgroup_id_x 1
		.amdhsa_system_sgpr_workgroup_id_y 0
		.amdhsa_system_sgpr_workgroup_id_z 0
		.amdhsa_system_sgpr_workgroup_info 0
		.amdhsa_system_vgpr_workitem_id 0
		.amdhsa_next_free_vgpr 56
		.amdhsa_next_free_sgpr 41
		.amdhsa_accum_offset 56
		.amdhsa_reserve_vcc 1
		.amdhsa_reserve_flat_scratch 0
		.amdhsa_float_round_mode_32 0
		.amdhsa_float_round_mode_16_64 0
		.amdhsa_float_denorm_mode_32 3
		.amdhsa_float_denorm_mode_16_64 3
		.amdhsa_dx10_clamp 1
		.amdhsa_ieee_mode 1
		.amdhsa_fp16_overflow 0
		.amdhsa_tg_split 0
		.amdhsa_exception_fp_ieee_invalid_op 0
		.amdhsa_exception_fp_denorm_src 0
		.amdhsa_exception_fp_ieee_div_zero 0
		.amdhsa_exception_fp_ieee_overflow 0
		.amdhsa_exception_fp_ieee_underflow 0
		.amdhsa_exception_fp_ieee_inexact 0
		.amdhsa_exception_int_div_zero 0
	.end_amdhsa_kernel
	.section	.text._Z15sort_key_kernelILj33ELj5ELb0ELb0EdEvPT3_jj,"axG",@progbits,_Z15sort_key_kernelILj33ELj5ELb0ELb0EdEvPT3_jj,comdat
.Lfunc_end11:
	.size	_Z15sort_key_kernelILj33ELj5ELb0ELb0EdEvPT3_jj, .Lfunc_end11-_Z15sort_key_kernelILj33ELj5ELb0ELb0EdEvPT3_jj
                                        ; -- End function
	.section	.AMDGPU.csdata,"",@progbits
; Kernel info:
; codeLenInByte = 3824
; NumSgprs: 45
; NumVgprs: 56
; NumAgprs: 0
; TotalNumVgprs: 56
; ScratchSize: 0
; MemoryBound: 0
; FloatMode: 240
; IeeeMode: 1
; LDSByteSize: 1328 bytes/workgroup (compile time only)
; SGPRBlocks: 5
; VGPRBlocks: 6
; NumSGPRsForWavesPerEU: 45
; NumVGPRsForWavesPerEU: 56
; AccumOffset: 56
; Occupancy: 8
; WaveLimiterHint : 0
; COMPUTE_PGM_RSRC2:SCRATCH_EN: 0
; COMPUTE_PGM_RSRC2:USER_SGPR: 6
; COMPUTE_PGM_RSRC2:TRAP_HANDLER: 0
; COMPUTE_PGM_RSRC2:TGID_X_EN: 1
; COMPUTE_PGM_RSRC2:TGID_Y_EN: 0
; COMPUTE_PGM_RSRC2:TGID_Z_EN: 0
; COMPUTE_PGM_RSRC2:TIDIG_COMP_CNT: 0
; COMPUTE_PGM_RSRC3_GFX90A:ACCUM_OFFSET: 13
; COMPUTE_PGM_RSRC3_GFX90A:TG_SPLIT: 0
	.section	.text._Z15sort_key_kernelILj256ELj7ELb0ELb0EtEvPT3_jj,"axG",@progbits,_Z15sort_key_kernelILj256ELj7ELb0ELb0EtEvPT3_jj,comdat
	.protected	_Z15sort_key_kernelILj256ELj7ELb0ELb0EtEvPT3_jj ; -- Begin function _Z15sort_key_kernelILj256ELj7ELb0ELb0EtEvPT3_jj
	.globl	_Z15sort_key_kernelILj256ELj7ELb0ELb0EtEvPT3_jj
	.p2align	8
	.type	_Z15sort_key_kernelILj256ELj7ELb0ELb0EtEvPT3_jj,@function
_Z15sort_key_kernelILj256ELj7ELb0ELb0EtEvPT3_jj: ; @_Z15sort_key_kernelILj256ELj7ELb0ELb0EtEvPT3_jj
; %bb.0:
	s_load_dwordx4 s[28:31], s[4:5], 0x0
	s_mul_i32 s34, s6, 0x700
	s_mov_b32 s35, 0
	v_and_b32_e32 v6, 0x3ff, v0
	s_lshl_b64 s[0:1], s[34:35], 1
	s_waitcnt lgkmcnt(0)
	s_add_u32 s14, s28, s0
	v_mul_u32_u24_e32 v1, 7, v6
	s_addc_u32 s15, s29, s1
	v_lshlrev_b32_e32 v7, 1, v1
	global_load_dwordx3 v[8:10], v7, s[14:15]
	global_load_ushort v1, v7, s[14:15] offset:12
	v_mbcnt_lo_u32_b32 v2, -1, 0
	v_bfe_u32 v24, v0, 10, 10
	v_bfe_u32 v25, v0, 20, 10
	v_lshrrev_b32_e32 v0, 6, v6
	v_mbcnt_hi_u32_b32 v17, -1, v2
	v_mul_u32_u24_e32 v2, 0x1c0, v0
	s_cmp_lg_u32 s30, 0
	v_lshlrev_b32_e32 v15, 2, v0
	v_lshlrev_b32_e32 v0, 1, v2
	v_add_lshl_u32 v16, v17, v2, 1
	v_mov_b32_e32 v2, s15
	v_add_co_u32_e32 v4, vcc, s14, v7
	s_cselect_b64 s[14:15], -1, 0
	s_cmp_lg_u32 s31, 16
	s_cselect_b64 s[16:17], -1, 0
	v_addc_co_u32_e32 v5, vcc, 0, v2, vcc
	s_or_b64 s[14:15], s[14:15], s[16:17]
	s_mov_b64 s[12:13], -1
	v_lshlrev_b32_e32 v14, 4, v6
	v_and_b32_e32 v22, 15, v17
	v_and_b32_e32 v23, 16, v17
	v_cmp_lt_u32_e64 s[0:1], 31, v17
	v_cmp_gt_u32_e64 s[2:3], 4, v6
	v_cmp_lt_u32_e64 s[6:7], 63, v6
	v_add_u32_e32 v18, -1, v17
	v_and_b32_e32 v19, 64, v17
	v_cmp_eq_u32_e64 s[8:9], 0, v17
	v_cmp_eq_u32_e64 s[10:11], 0, v6
	v_mul_i32_i24_e32 v20, -12, v6
	v_and_b32_e32 v21, 3, v17
	v_mad_u32_u24 v0, v17, 14, v0
	s_and_b64 vcc, exec, s[14:15]
	s_waitcnt vmcnt(1)
	ds_write_b96 v0, v[8:10]
	s_waitcnt vmcnt(0)
	ds_write_b16 v0, v1 offset:12
	s_cbranch_vccz .LBB12_26
; %bb.1:
	; wave barrier
	ds_read_u16 v1, v16
	ds_read_u16 v8, v16 offset:128
	ds_read_u16 v9, v16 offset:256
	;; [unrolled: 1-line block ×6, first 2 shown]
	s_waitcnt lgkmcnt(0)
	s_barrier
	s_waitcnt lgkmcnt(0)
	; wave barrier
	s_barrier
	s_load_dword s12, s[4:5], 0x1c
	v_cmp_lt_i32_e32 vcc, v18, v19
	s_mov_b32 s33, 0x5040100
	s_mov_b32 s34, s35
	;; [unrolled: 1-line block ×3, first 2 shown]
	s_waitcnt lgkmcnt(0)
	s_lshr_b32 s13, s12, 16
	s_and_b32 s12, s12, 0xffff
	v_mad_u32_u24 v2, v25, s13, v24
	v_mad_u64_u32 v[2:3], s[12:13], v2, s12, v[6:7]
	v_lshrrev_b32_e32 v26, 6, v2
	v_and_b32_e32 v2, 0x3c0, v6
	v_min_u32_e32 v2, 0xc0, v2
	v_or_b32_e32 v2, 63, v2
	v_cmp_eq_u32_e64 s[22:23], v2, v6
	v_cndmask_b32_e32 v2, v18, v17, vcc
	s_mov_b32 s29, s35
	v_cmp_eq_u32_e64 s[12:13], 0, v22
	v_cmp_lt_u32_e64 s[14:15], 1, v22
	v_cmp_lt_u32_e64 s[16:17], 3, v22
	;; [unrolled: 1-line block ×3, first 2 shown]
	v_cmp_eq_u32_e64 s[20:21], 0, v23
	v_lshlrev_b32_e32 v27, 2, v2
	v_cmp_eq_u32_e64 s[24:25], 0, v21
	v_cmp_lt_u32_e64 s[26:27], 1, v21
	v_add_u32_e32 v28, -4, v15
	v_perm_b32 v33, v8, v1, s33
	v_perm_b32 v39, v10, v9, s33
	;; [unrolled: 1-line block ×3, first 2 shown]
	s_sub_i32 s36, s31, s30
	v_pk_mov_b32 v[8:9], s[34:35], s[34:35] op_sel:[0,1]
	v_pk_mov_b32 v[10:11], s[28:29], s[28:29] op_sel:[0,1]
	v_add_u32_e32 v29, v14, v20
	v_mov_b32_e32 v12, 0
	s_branch .LBB12_3
.LBB12_2:                               ;   in Loop: Header=BB12_3 Depth=1
	s_barrier
	ds_write_b16 v1, v33
	ds_write_b16 v2, v34
	ds_write_b16 v35, v32
	ds_write_b16 v36, v42
	ds_write_b16 v37, v31
	ds_write_b16 v38, v49
	ds_write_b16 v13, v30
	s_waitcnt lgkmcnt(0)
	s_barrier
	ds_read_u16 v33, v16
	ds_read_u16 v39, v16 offset:128
	ds_read_u16 v40, v16 offset:256
	ds_read_u16 v41, v16 offset:384
	ds_read_u16 v43, v16 offset:512
	ds_read_u16 v44, v16 offset:640
	ds_read_u16 v0, v16 offset:768
	s_waitcnt lgkmcnt(5)
	v_perm_b32 v33, v39, v33, s33
	s_waitcnt lgkmcnt(3)
	v_perm_b32 v39, v41, v40, s33
	s_add_i32 s36, s36, -8
	s_waitcnt lgkmcnt(1)
	v_perm_b32 v40, v44, v43, s33
	s_waitcnt lgkmcnt(0)
	s_barrier
	s_cbranch_execz .LBB12_25
.LBB12_3:                               ; =>This Inner Loop Header: Depth=1
	s_min_u32 s28, s36, 8
	s_lshl_b32 s28, -1, s28
	v_mov_b32_e32 v30, v0
	s_not_b32 s34, s28
	v_lshrrev_b32_sdwa v0, s30, v33 dst_sel:DWORD dst_unused:UNUSED_PAD src0_sel:DWORD src1_sel:WORD_0
	v_and_b32_e32 v0, s34, v0
	v_lshl_add_u32 v1, v0, 2, v26
	v_lshl_add_u32 v35, v1, 2, 16
	v_and_b32_e32 v1, 1, v0
	v_add_co_u32_e32 v2, vcc, -1, v1
	v_addc_co_u32_e64 v3, s[28:29], 0, -1, vcc
	v_cmp_ne_u32_e32 vcc, 0, v1
	v_lshlrev_b32_e32 v13, 30, v0
	v_xor_b32_e32 v1, vcc_hi, v3
	v_not_b32_e32 v3, v13
	v_xor_b32_e32 v2, vcc_lo, v2
	v_cmp_gt_i64_e32 vcc, 0, v[12:13]
	v_ashrrev_i32_e32 v3, 31, v3
	v_and_b32_e32 v1, exec_hi, v1
	v_xor_b32_e32 v13, vcc_hi, v3
	v_and_b32_e32 v2, exec_lo, v2
	v_xor_b32_e32 v3, vcc_lo, v3
	v_and_b32_e32 v1, v1, v13
	v_lshlrev_b32_e32 v13, 29, v0
	v_and_b32_e32 v2, v2, v3
	v_not_b32_e32 v3, v13
	v_cmp_gt_i64_e32 vcc, 0, v[12:13]
	v_ashrrev_i32_e32 v3, 31, v3
	v_xor_b32_e32 v13, vcc_hi, v3
	v_xor_b32_e32 v3, vcc_lo, v3
	v_and_b32_e32 v1, v1, v13
	v_lshlrev_b32_e32 v13, 28, v0
	v_and_b32_e32 v2, v2, v3
	v_not_b32_e32 v3, v13
	v_cmp_gt_i64_e32 vcc, 0, v[12:13]
	v_ashrrev_i32_e32 v3, 31, v3
	v_xor_b32_e32 v13, vcc_hi, v3
	;; [unrolled: 8-line block ×5, first 2 shown]
	v_and_b32_e32 v1, v1, v13
	v_lshlrev_b32_e32 v13, 24, v0
	v_not_b32_e32 v0, v13
	v_xor_b32_e32 v3, vcc_lo, v3
	v_cmp_gt_i64_e32 vcc, 0, v[12:13]
	v_ashrrev_i32_e32 v0, 31, v0
	v_and_b32_e32 v2, v2, v3
	v_xor_b32_e32 v3, vcc_hi, v0
	v_xor_b32_e32 v0, vcc_lo, v0
	v_and_b32_e32 v0, v2, v0
	v_and_b32_e32 v1, v1, v3
	v_mbcnt_lo_u32_b32 v2, v0, 0
	v_mbcnt_hi_u32_b32 v36, v1, v2
	v_cmp_eq_u32_e32 vcc, 0, v36
	v_cmp_ne_u64_e64 s[28:29], 0, v[0:1]
	v_mov_b32_e32 v31, v40
	v_mov_b32_e32 v32, v39
	s_and_b64 s[38:39], s[28:29], vcc
	ds_write2_b64 v14, v[8:9], v[10:11] offset0:2 offset1:3
	s_waitcnt lgkmcnt(0)
	s_barrier
	s_waitcnt lgkmcnt(0)
	; wave barrier
	s_and_saveexec_b64 s[28:29], s[38:39]
	s_cbranch_execz .LBB12_5
; %bb.4:                                ;   in Loop: Header=BB12_3 Depth=1
	v_bcnt_u32_b32 v0, v0, 0
	v_bcnt_u32_b32 v0, v1, v0
	ds_write_b32 v35, v0
.LBB12_5:                               ;   in Loop: Header=BB12_3 Depth=1
	s_or_b64 exec, exec, s[28:29]
	v_lshrrev_b32_e32 v34, 16, v33
	v_lshrrev_b32_e32 v0, s30, v34
	v_and_b32_e32 v0, s34, v0
	v_lshlrev_b32_e32 v1, 2, v0
	v_add_lshl_u32 v1, v1, v26, 2
	; wave barrier
	v_add_u32_e32 v38, 16, v1
	ds_read_b32 v37, v1 offset:16
	v_and_b32_e32 v1, 1, v0
	v_add_co_u32_e32 v2, vcc, -1, v1
	v_addc_co_u32_e64 v3, s[28:29], 0, -1, vcc
	v_cmp_ne_u32_e32 vcc, 0, v1
	v_lshlrev_b32_e32 v13, 30, v0
	v_xor_b32_e32 v1, vcc_hi, v3
	v_not_b32_e32 v3, v13
	v_xor_b32_e32 v2, vcc_lo, v2
	v_cmp_gt_i64_e32 vcc, 0, v[12:13]
	v_ashrrev_i32_e32 v3, 31, v3
	v_and_b32_e32 v1, exec_hi, v1
	v_xor_b32_e32 v13, vcc_hi, v3
	v_and_b32_e32 v2, exec_lo, v2
	v_xor_b32_e32 v3, vcc_lo, v3
	v_and_b32_e32 v1, v1, v13
	v_lshlrev_b32_e32 v13, 29, v0
	v_and_b32_e32 v2, v2, v3
	v_not_b32_e32 v3, v13
	v_cmp_gt_i64_e32 vcc, 0, v[12:13]
	v_ashrrev_i32_e32 v3, 31, v3
	v_xor_b32_e32 v13, vcc_hi, v3
	v_xor_b32_e32 v3, vcc_lo, v3
	v_and_b32_e32 v1, v1, v13
	v_lshlrev_b32_e32 v13, 28, v0
	v_and_b32_e32 v2, v2, v3
	v_not_b32_e32 v3, v13
	v_cmp_gt_i64_e32 vcc, 0, v[12:13]
	v_ashrrev_i32_e32 v3, 31, v3
	v_xor_b32_e32 v13, vcc_hi, v3
	;; [unrolled: 8-line block ×5, first 2 shown]
	v_and_b32_e32 v1, v1, v13
	v_lshlrev_b32_e32 v13, 24, v0
	v_not_b32_e32 v0, v13
	v_xor_b32_e32 v3, vcc_lo, v3
	v_cmp_gt_i64_e32 vcc, 0, v[12:13]
	v_ashrrev_i32_e32 v0, 31, v0
	v_and_b32_e32 v2, v2, v3
	v_xor_b32_e32 v3, vcc_hi, v0
	v_xor_b32_e32 v0, vcc_lo, v0
	v_and_b32_e32 v0, v2, v0
	v_and_b32_e32 v1, v1, v3
	v_mbcnt_lo_u32_b32 v2, v0, 0
	v_mbcnt_hi_u32_b32 v39, v1, v2
	v_cmp_eq_u32_e32 vcc, 0, v39
	v_cmp_ne_u64_e64 s[28:29], 0, v[0:1]
	s_and_b64 s[38:39], s[28:29], vcc
	; wave barrier
	s_and_saveexec_b64 s[28:29], s[38:39]
	s_cbranch_execz .LBB12_7
; %bb.6:                                ;   in Loop: Header=BB12_3 Depth=1
	v_bcnt_u32_b32 v0, v0, 0
	v_bcnt_u32_b32 v0, v1, v0
	s_waitcnt lgkmcnt(0)
	v_add_u32_e32 v0, v37, v0
	ds_write_b32 v38, v0
.LBB12_7:                               ;   in Loop: Header=BB12_3 Depth=1
	s_or_b64 exec, exec, s[28:29]
	v_lshrrev_b32_sdwa v0, s30, v32 dst_sel:DWORD dst_unused:UNUSED_PAD src0_sel:DWORD src1_sel:WORD_0
	v_and_b32_e32 v0, s34, v0
	v_lshlrev_b32_e32 v1, 2, v0
	v_add_lshl_u32 v1, v1, v26, 2
	; wave barrier
	v_add_u32_e32 v41, 16, v1
	ds_read_b32 v40, v1 offset:16
	v_and_b32_e32 v1, 1, v0
	v_add_co_u32_e32 v2, vcc, -1, v1
	v_addc_co_u32_e64 v3, s[28:29], 0, -1, vcc
	v_cmp_ne_u32_e32 vcc, 0, v1
	v_lshlrev_b32_e32 v13, 30, v0
	v_xor_b32_e32 v1, vcc_hi, v3
	v_not_b32_e32 v3, v13
	v_xor_b32_e32 v2, vcc_lo, v2
	v_cmp_gt_i64_e32 vcc, 0, v[12:13]
	v_ashrrev_i32_e32 v3, 31, v3
	v_and_b32_e32 v1, exec_hi, v1
	v_xor_b32_e32 v13, vcc_hi, v3
	v_and_b32_e32 v2, exec_lo, v2
	v_xor_b32_e32 v3, vcc_lo, v3
	v_and_b32_e32 v1, v1, v13
	v_lshlrev_b32_e32 v13, 29, v0
	v_and_b32_e32 v2, v2, v3
	v_not_b32_e32 v3, v13
	v_cmp_gt_i64_e32 vcc, 0, v[12:13]
	v_ashrrev_i32_e32 v3, 31, v3
	v_xor_b32_e32 v13, vcc_hi, v3
	v_xor_b32_e32 v3, vcc_lo, v3
	v_and_b32_e32 v1, v1, v13
	v_lshlrev_b32_e32 v13, 28, v0
	v_and_b32_e32 v2, v2, v3
	v_not_b32_e32 v3, v13
	v_cmp_gt_i64_e32 vcc, 0, v[12:13]
	v_ashrrev_i32_e32 v3, 31, v3
	v_xor_b32_e32 v13, vcc_hi, v3
	;; [unrolled: 8-line block ×5, first 2 shown]
	v_and_b32_e32 v1, v1, v13
	v_lshlrev_b32_e32 v13, 24, v0
	v_not_b32_e32 v0, v13
	v_xor_b32_e32 v3, vcc_lo, v3
	v_cmp_gt_i64_e32 vcc, 0, v[12:13]
	v_ashrrev_i32_e32 v0, 31, v0
	v_and_b32_e32 v2, v2, v3
	v_xor_b32_e32 v3, vcc_hi, v0
	v_xor_b32_e32 v0, vcc_lo, v0
	v_and_b32_e32 v0, v2, v0
	v_and_b32_e32 v1, v1, v3
	v_mbcnt_lo_u32_b32 v2, v0, 0
	v_mbcnt_hi_u32_b32 v43, v1, v2
	v_cmp_eq_u32_e32 vcc, 0, v43
	v_cmp_ne_u64_e64 s[28:29], 0, v[0:1]
	s_and_b64 s[38:39], s[28:29], vcc
	; wave barrier
	s_and_saveexec_b64 s[28:29], s[38:39]
	s_cbranch_execz .LBB12_9
; %bb.8:                                ;   in Loop: Header=BB12_3 Depth=1
	v_bcnt_u32_b32 v0, v0, 0
	v_bcnt_u32_b32 v0, v1, v0
	s_waitcnt lgkmcnt(0)
	v_add_u32_e32 v0, v40, v0
	ds_write_b32 v41, v0
.LBB12_9:                               ;   in Loop: Header=BB12_3 Depth=1
	s_or_b64 exec, exec, s[28:29]
	v_lshrrev_b32_e32 v42, 16, v32
	v_lshrrev_b32_e32 v0, s30, v42
	v_and_b32_e32 v0, s34, v0
	v_lshlrev_b32_e32 v1, 2, v0
	v_add_lshl_u32 v1, v1, v26, 2
	; wave barrier
	v_add_u32_e32 v45, 16, v1
	ds_read_b32 v44, v1 offset:16
	v_and_b32_e32 v1, 1, v0
	v_add_co_u32_e32 v2, vcc, -1, v1
	v_addc_co_u32_e64 v3, s[28:29], 0, -1, vcc
	v_cmp_ne_u32_e32 vcc, 0, v1
	v_lshlrev_b32_e32 v13, 30, v0
	v_xor_b32_e32 v1, vcc_hi, v3
	v_not_b32_e32 v3, v13
	v_xor_b32_e32 v2, vcc_lo, v2
	v_cmp_gt_i64_e32 vcc, 0, v[12:13]
	v_ashrrev_i32_e32 v3, 31, v3
	v_and_b32_e32 v1, exec_hi, v1
	v_xor_b32_e32 v13, vcc_hi, v3
	v_and_b32_e32 v2, exec_lo, v2
	v_xor_b32_e32 v3, vcc_lo, v3
	v_and_b32_e32 v1, v1, v13
	v_lshlrev_b32_e32 v13, 29, v0
	v_and_b32_e32 v2, v2, v3
	v_not_b32_e32 v3, v13
	v_cmp_gt_i64_e32 vcc, 0, v[12:13]
	v_ashrrev_i32_e32 v3, 31, v3
	v_xor_b32_e32 v13, vcc_hi, v3
	v_xor_b32_e32 v3, vcc_lo, v3
	v_and_b32_e32 v1, v1, v13
	v_lshlrev_b32_e32 v13, 28, v0
	v_and_b32_e32 v2, v2, v3
	v_not_b32_e32 v3, v13
	v_cmp_gt_i64_e32 vcc, 0, v[12:13]
	v_ashrrev_i32_e32 v3, 31, v3
	v_xor_b32_e32 v13, vcc_hi, v3
	;; [unrolled: 8-line block ×5, first 2 shown]
	v_and_b32_e32 v1, v1, v13
	v_lshlrev_b32_e32 v13, 24, v0
	v_not_b32_e32 v0, v13
	v_xor_b32_e32 v3, vcc_lo, v3
	v_cmp_gt_i64_e32 vcc, 0, v[12:13]
	v_ashrrev_i32_e32 v0, 31, v0
	v_and_b32_e32 v2, v2, v3
	v_xor_b32_e32 v3, vcc_hi, v0
	v_xor_b32_e32 v0, vcc_lo, v0
	v_and_b32_e32 v0, v2, v0
	v_and_b32_e32 v1, v1, v3
	v_mbcnt_lo_u32_b32 v2, v0, 0
	v_mbcnt_hi_u32_b32 v46, v1, v2
	v_cmp_eq_u32_e32 vcc, 0, v46
	v_cmp_ne_u64_e64 s[28:29], 0, v[0:1]
	s_and_b64 s[38:39], s[28:29], vcc
	; wave barrier
	s_and_saveexec_b64 s[28:29], s[38:39]
	s_cbranch_execz .LBB12_11
; %bb.10:                               ;   in Loop: Header=BB12_3 Depth=1
	v_bcnt_u32_b32 v0, v0, 0
	v_bcnt_u32_b32 v0, v1, v0
	s_waitcnt lgkmcnt(0)
	v_add_u32_e32 v0, v44, v0
	ds_write_b32 v45, v0
.LBB12_11:                              ;   in Loop: Header=BB12_3 Depth=1
	s_or_b64 exec, exec, s[28:29]
	v_lshrrev_b32_sdwa v0, s30, v31 dst_sel:DWORD dst_unused:UNUSED_PAD src0_sel:DWORD src1_sel:WORD_0
	v_and_b32_e32 v0, s34, v0
	v_lshlrev_b32_e32 v1, 2, v0
	v_add_lshl_u32 v1, v1, v26, 2
	; wave barrier
	v_add_u32_e32 v48, 16, v1
	ds_read_b32 v47, v1 offset:16
	v_and_b32_e32 v1, 1, v0
	v_add_co_u32_e32 v2, vcc, -1, v1
	v_addc_co_u32_e64 v3, s[28:29], 0, -1, vcc
	v_cmp_ne_u32_e32 vcc, 0, v1
	v_lshlrev_b32_e32 v13, 30, v0
	v_xor_b32_e32 v1, vcc_hi, v3
	v_not_b32_e32 v3, v13
	v_xor_b32_e32 v2, vcc_lo, v2
	v_cmp_gt_i64_e32 vcc, 0, v[12:13]
	v_ashrrev_i32_e32 v3, 31, v3
	v_and_b32_e32 v1, exec_hi, v1
	v_xor_b32_e32 v13, vcc_hi, v3
	v_and_b32_e32 v2, exec_lo, v2
	v_xor_b32_e32 v3, vcc_lo, v3
	v_and_b32_e32 v1, v1, v13
	v_lshlrev_b32_e32 v13, 29, v0
	v_and_b32_e32 v2, v2, v3
	v_not_b32_e32 v3, v13
	v_cmp_gt_i64_e32 vcc, 0, v[12:13]
	v_ashrrev_i32_e32 v3, 31, v3
	v_xor_b32_e32 v13, vcc_hi, v3
	v_xor_b32_e32 v3, vcc_lo, v3
	v_and_b32_e32 v1, v1, v13
	v_lshlrev_b32_e32 v13, 28, v0
	v_and_b32_e32 v2, v2, v3
	v_not_b32_e32 v3, v13
	v_cmp_gt_i64_e32 vcc, 0, v[12:13]
	v_ashrrev_i32_e32 v3, 31, v3
	v_xor_b32_e32 v13, vcc_hi, v3
	;; [unrolled: 8-line block ×5, first 2 shown]
	v_and_b32_e32 v1, v1, v13
	v_lshlrev_b32_e32 v13, 24, v0
	v_not_b32_e32 v0, v13
	v_xor_b32_e32 v3, vcc_lo, v3
	v_cmp_gt_i64_e32 vcc, 0, v[12:13]
	v_ashrrev_i32_e32 v0, 31, v0
	v_and_b32_e32 v2, v2, v3
	v_xor_b32_e32 v3, vcc_hi, v0
	v_xor_b32_e32 v0, vcc_lo, v0
	v_and_b32_e32 v0, v2, v0
	v_and_b32_e32 v1, v1, v3
	v_mbcnt_lo_u32_b32 v2, v0, 0
	v_mbcnt_hi_u32_b32 v50, v1, v2
	v_cmp_eq_u32_e32 vcc, 0, v50
	v_cmp_ne_u64_e64 s[28:29], 0, v[0:1]
	s_and_b64 s[38:39], s[28:29], vcc
	; wave barrier
	s_and_saveexec_b64 s[28:29], s[38:39]
	s_cbranch_execz .LBB12_13
; %bb.12:                               ;   in Loop: Header=BB12_3 Depth=1
	v_bcnt_u32_b32 v0, v0, 0
	v_bcnt_u32_b32 v0, v1, v0
	s_waitcnt lgkmcnt(0)
	v_add_u32_e32 v0, v47, v0
	ds_write_b32 v48, v0
.LBB12_13:                              ;   in Loop: Header=BB12_3 Depth=1
	s_or_b64 exec, exec, s[28:29]
	v_lshrrev_b32_e32 v49, 16, v31
	v_lshrrev_b32_e32 v0, s30, v49
	v_and_b32_e32 v0, s34, v0
	v_lshlrev_b32_e32 v1, 2, v0
	v_add_lshl_u32 v1, v1, v26, 2
	; wave barrier
	v_add_u32_e32 v52, 16, v1
	ds_read_b32 v51, v1 offset:16
	v_and_b32_e32 v1, 1, v0
	v_add_co_u32_e32 v2, vcc, -1, v1
	v_addc_co_u32_e64 v3, s[28:29], 0, -1, vcc
	v_cmp_ne_u32_e32 vcc, 0, v1
	v_lshlrev_b32_e32 v13, 30, v0
	v_xor_b32_e32 v1, vcc_hi, v3
	v_not_b32_e32 v3, v13
	v_xor_b32_e32 v2, vcc_lo, v2
	v_cmp_gt_i64_e32 vcc, 0, v[12:13]
	v_ashrrev_i32_e32 v3, 31, v3
	v_and_b32_e32 v1, exec_hi, v1
	v_xor_b32_e32 v13, vcc_hi, v3
	v_and_b32_e32 v2, exec_lo, v2
	v_xor_b32_e32 v3, vcc_lo, v3
	v_and_b32_e32 v1, v1, v13
	v_lshlrev_b32_e32 v13, 29, v0
	v_and_b32_e32 v2, v2, v3
	v_not_b32_e32 v3, v13
	v_cmp_gt_i64_e32 vcc, 0, v[12:13]
	v_ashrrev_i32_e32 v3, 31, v3
	v_xor_b32_e32 v13, vcc_hi, v3
	v_xor_b32_e32 v3, vcc_lo, v3
	v_and_b32_e32 v1, v1, v13
	v_lshlrev_b32_e32 v13, 28, v0
	v_and_b32_e32 v2, v2, v3
	v_not_b32_e32 v3, v13
	v_cmp_gt_i64_e32 vcc, 0, v[12:13]
	v_ashrrev_i32_e32 v3, 31, v3
	v_xor_b32_e32 v13, vcc_hi, v3
	;; [unrolled: 8-line block ×5, first 2 shown]
	v_and_b32_e32 v1, v1, v13
	v_lshlrev_b32_e32 v13, 24, v0
	v_not_b32_e32 v0, v13
	v_xor_b32_e32 v3, vcc_lo, v3
	v_cmp_gt_i64_e32 vcc, 0, v[12:13]
	v_ashrrev_i32_e32 v0, 31, v0
	v_and_b32_e32 v2, v2, v3
	v_xor_b32_e32 v3, vcc_hi, v0
	v_xor_b32_e32 v0, vcc_lo, v0
	v_and_b32_e32 v0, v2, v0
	v_and_b32_e32 v1, v1, v3
	v_mbcnt_lo_u32_b32 v2, v0, 0
	v_mbcnt_hi_u32_b32 v53, v1, v2
	v_cmp_eq_u32_e32 vcc, 0, v53
	v_cmp_ne_u64_e64 s[28:29], 0, v[0:1]
	s_and_b64 s[38:39], s[28:29], vcc
	; wave barrier
	s_and_saveexec_b64 s[28:29], s[38:39]
	s_cbranch_execz .LBB12_15
; %bb.14:                               ;   in Loop: Header=BB12_3 Depth=1
	v_bcnt_u32_b32 v0, v0, 0
	v_bcnt_u32_b32 v0, v1, v0
	s_waitcnt lgkmcnt(0)
	v_add_u32_e32 v0, v51, v0
	ds_write_b32 v52, v0
.LBB12_15:                              ;   in Loop: Header=BB12_3 Depth=1
	s_or_b64 exec, exec, s[28:29]
	v_lshrrev_b32_sdwa v0, s30, v30 dst_sel:DWORD dst_unused:UNUSED_PAD src0_sel:DWORD src1_sel:WORD_0
	v_and_b32_e32 v0, s34, v0
	v_lshlrev_b32_e32 v1, 2, v0
	v_add_lshl_u32 v1, v1, v26, 2
	; wave barrier
	v_add_u32_e32 v55, 16, v1
	ds_read_b32 v54, v1 offset:16
	v_and_b32_e32 v1, 1, v0
	v_add_co_u32_e32 v2, vcc, -1, v1
	v_addc_co_u32_e64 v3, s[28:29], 0, -1, vcc
	v_cmp_ne_u32_e32 vcc, 0, v1
	v_lshlrev_b32_e32 v13, 30, v0
	v_xor_b32_e32 v1, vcc_hi, v3
	v_not_b32_e32 v3, v13
	v_xor_b32_e32 v2, vcc_lo, v2
	v_cmp_gt_i64_e32 vcc, 0, v[12:13]
	v_ashrrev_i32_e32 v3, 31, v3
	v_and_b32_e32 v1, exec_hi, v1
	v_xor_b32_e32 v13, vcc_hi, v3
	v_and_b32_e32 v2, exec_lo, v2
	v_xor_b32_e32 v3, vcc_lo, v3
	v_and_b32_e32 v1, v1, v13
	v_lshlrev_b32_e32 v13, 29, v0
	v_and_b32_e32 v2, v2, v3
	v_not_b32_e32 v3, v13
	v_cmp_gt_i64_e32 vcc, 0, v[12:13]
	v_ashrrev_i32_e32 v3, 31, v3
	v_xor_b32_e32 v13, vcc_hi, v3
	v_xor_b32_e32 v3, vcc_lo, v3
	v_and_b32_e32 v1, v1, v13
	v_lshlrev_b32_e32 v13, 28, v0
	v_and_b32_e32 v2, v2, v3
	v_not_b32_e32 v3, v13
	v_cmp_gt_i64_e32 vcc, 0, v[12:13]
	v_ashrrev_i32_e32 v3, 31, v3
	v_xor_b32_e32 v13, vcc_hi, v3
	;; [unrolled: 8-line block ×5, first 2 shown]
	v_and_b32_e32 v1, v1, v13
	v_lshlrev_b32_e32 v13, 24, v0
	v_not_b32_e32 v0, v13
	v_xor_b32_e32 v3, vcc_lo, v3
	v_cmp_gt_i64_e32 vcc, 0, v[12:13]
	v_ashrrev_i32_e32 v0, 31, v0
	v_and_b32_e32 v2, v2, v3
	v_xor_b32_e32 v3, vcc_hi, v0
	v_xor_b32_e32 v0, vcc_lo, v0
	v_and_b32_e32 v0, v2, v0
	v_and_b32_e32 v1, v1, v3
	v_mbcnt_lo_u32_b32 v2, v0, 0
	v_mbcnt_hi_u32_b32 v13, v1, v2
	v_cmp_eq_u32_e32 vcc, 0, v13
	v_cmp_ne_u64_e64 s[28:29], 0, v[0:1]
	s_and_b64 s[34:35], s[28:29], vcc
	; wave barrier
	s_and_saveexec_b64 s[28:29], s[34:35]
	s_cbranch_execz .LBB12_17
; %bb.16:                               ;   in Loop: Header=BB12_3 Depth=1
	v_bcnt_u32_b32 v0, v0, 0
	v_bcnt_u32_b32 v0, v1, v0
	s_waitcnt lgkmcnt(0)
	v_add_u32_e32 v0, v54, v0
	ds_write_b32 v55, v0
.LBB12_17:                              ;   in Loop: Header=BB12_3 Depth=1
	s_or_b64 exec, exec, s[28:29]
	; wave barrier
	s_waitcnt lgkmcnt(0)
	s_barrier
	ds_read2_b64 v[0:3], v14 offset0:2 offset1:3
	s_waitcnt lgkmcnt(0)
	v_add_u32_e32 v56, v1, v0
	v_add3_u32 v3, v56, v2, v3
	s_nop 1
	v_mov_b32_dpp v56, v3 row_shr:1 row_mask:0xf bank_mask:0xf
	v_cndmask_b32_e64 v56, v56, 0, s[12:13]
	v_add_u32_e32 v3, v56, v3
	s_nop 1
	v_mov_b32_dpp v56, v3 row_shr:2 row_mask:0xf bank_mask:0xf
	v_cndmask_b32_e64 v56, 0, v56, s[14:15]
	v_add_u32_e32 v3, v3, v56
	;; [unrolled: 4-line block ×4, first 2 shown]
	s_nop 1
	v_mov_b32_dpp v56, v3 row_bcast:15 row_mask:0xf bank_mask:0xf
	v_cndmask_b32_e64 v56, v56, 0, s[20:21]
	v_add_u32_e32 v3, v3, v56
	s_nop 1
	v_mov_b32_dpp v56, v3 row_bcast:31 row_mask:0xf bank_mask:0xf
	v_cndmask_b32_e64 v56, 0, v56, s[0:1]
	v_add_u32_e32 v3, v3, v56
	s_and_saveexec_b64 s[28:29], s[22:23]
	s_cbranch_execz .LBB12_19
; %bb.18:                               ;   in Loop: Header=BB12_3 Depth=1
	ds_write_b32 v15, v3
.LBB12_19:                              ;   in Loop: Header=BB12_3 Depth=1
	s_or_b64 exec, exec, s[28:29]
	s_waitcnt lgkmcnt(0)
	s_barrier
	s_and_saveexec_b64 s[28:29], s[2:3]
	s_cbranch_execz .LBB12_21
; %bb.20:                               ;   in Loop: Header=BB12_3 Depth=1
	ds_read_b32 v56, v29
	s_waitcnt lgkmcnt(0)
	s_nop 0
	v_mov_b32_dpp v57, v56 row_shr:1 row_mask:0xf bank_mask:0xf
	v_cndmask_b32_e64 v57, v57, 0, s[24:25]
	v_add_u32_e32 v56, v57, v56
	s_nop 1
	v_mov_b32_dpp v57, v56 row_shr:2 row_mask:0xf bank_mask:0xf
	v_cndmask_b32_e64 v57, 0, v57, s[26:27]
	v_add_u32_e32 v56, v56, v57
	ds_write_b32 v29, v56
.LBB12_21:                              ;   in Loop: Header=BB12_3 Depth=1
	s_or_b64 exec, exec, s[28:29]
	v_mov_b32_e32 v56, 0
	s_waitcnt lgkmcnt(0)
	s_barrier
	s_and_saveexec_b64 s[28:29], s[6:7]
	s_cbranch_execz .LBB12_23
; %bb.22:                               ;   in Loop: Header=BB12_3 Depth=1
	ds_read_b32 v56, v28
.LBB12_23:                              ;   in Loop: Header=BB12_3 Depth=1
	s_or_b64 exec, exec, s[28:29]
	s_waitcnt lgkmcnt(0)
	v_add_u32_e32 v3, v56, v3
	ds_bpermute_b32 v57, v27, v3
	s_add_i32 s30, s30, 8
	v_mov_b32_e32 v3, v33
	s_cmp_ge_u32 s30, s31
	s_waitcnt lgkmcnt(0)
	v_cndmask_b32_e64 v56, v57, v56, s[8:9]
	v_cndmask_b32_e64 v56, v56, 0, s[10:11]
	v_add_u32_e32 v57, v56, v0
	v_add_u32_e32 v0, v57, v1
	;; [unrolled: 1-line block ×3, first 2 shown]
	ds_write2_b64 v14, v[56:57], v[0:1] offset0:2 offset1:3
	s_waitcnt lgkmcnt(0)
	s_barrier
	ds_read_b32 v0, v35
	ds_read_b32 v2, v38
	;; [unrolled: 1-line block ×7, first 2 shown]
	v_lshlrev_b32_e32 v1, 1, v36
	s_waitcnt lgkmcnt(6)
	v_lshl_add_u32 v1, v0, 1, v1
	v_lshlrev_b32_e32 v0, 1, v39
	v_lshlrev_b32_e32 v36, 1, v37
	s_waitcnt lgkmcnt(5)
	v_lshlrev_b32_e32 v2, 1, v2
	v_add3_u32 v2, v0, v36, v2
	v_lshlrev_b32_e32 v0, 1, v43
	v_lshlrev_b32_e32 v36, 1, v40
	s_waitcnt lgkmcnt(4)
	v_lshlrev_b32_e32 v35, 1, v35
	v_add3_u32 v35, v0, v36, v35
	;; [unrolled: 5-line block ×6, first 2 shown]
	s_cbranch_scc0 .LBB12_2
; %bb.24:
                                        ; implicit-def: $vgpr0
                                        ; implicit-def: $vgpr40
                                        ; implicit-def: $vgpr39
                                        ; implicit-def: $vgpr33
                                        ; implicit-def: $sgpr36
.LBB12_25:
	s_mov_b64 s[12:13], 0
	s_barrier
	ds_write_b16 v1, v3
	ds_write_b16 v2, v34
	;; [unrolled: 1-line block ×7, first 2 shown]
	s_waitcnt lgkmcnt(0)
	s_barrier
.LBB12_26:
	s_and_b64 vcc, exec, s[12:13]
	s_cbranch_vccz .LBB12_68
; %bb.27:
	; wave barrier
	ds_read_u16 v31, v16
	ds_read_u16 v30, v16 offset:128
	ds_read_u16 v29, v16 offset:256
	;; [unrolled: 1-line block ×6, first 2 shown]
	s_waitcnt lgkmcnt(0)
	s_barrier
	s_waitcnt lgkmcnt(0)
	; wave barrier
	s_barrier
	s_load_dword s0, s[4:5], 0x1c
	v_mov_b32_e32 v8, 2
	s_waitcnt lgkmcnt(0)
	s_lshr_b32 s1, s0, 16
	s_and_b32 s0, s0, 0xffff
	v_mad_u32_u24 v0, v25, s1, v24
	v_mad_u64_u32 v[0:1], s[0:1], v0, s0, v[6:7]
	s_mov_b32 s0, 0
	s_mov_b32 s1, s0
	;; [unrolled: 1-line block ×4, first 2 shown]
	v_lshrrev_b32_e32 v10, 6, v0
	v_pk_mov_b32 v[0:1], s[0:1], s[0:1] op_sel:[0,1]
	v_pk_mov_b32 v[2:3], s[2:3], s[2:3] op_sel:[0,1]
	ds_write2_b64 v14, v[0:1], v[2:3] offset0:2 offset1:3
	v_and_b32_e32 v1, 1, v31
	v_add_co_u32_e32 v2, vcc, -1, v1
	v_addc_co_u32_e64 v3, s[0:1], 0, -1, vcc
	v_cmp_ne_u32_e32 vcc, 0, v1
	v_lshlrev_b16_sdwa v0, v8, v31 dst_sel:DWORD dst_unused:UNUSED_PAD src0_sel:DWORD src1_sel:BYTE_0
	v_xor_b32_e32 v1, vcc_hi, v3
	v_add_lshl_u32 v24, v10, v0, 2
	v_mov_b32_e32 v0, 0
	v_and_b32_e32 v3, exec_hi, v1
	v_lshlrev_b32_e32 v1, 30, v31
	v_xor_b32_e32 v2, vcc_lo, v2
	v_cmp_gt_i64_e32 vcc, 0, v[0:1]
	v_not_b32_e32 v1, v1
	v_ashrrev_i32_e32 v1, 31, v1
	v_and_b32_e32 v2, exec_lo, v2
	v_xor_b32_e32 v11, vcc_hi, v1
	v_xor_b32_e32 v1, vcc_lo, v1
	v_and_b32_e32 v2, v2, v1
	v_lshlrev_b32_e32 v1, 29, v31
	v_cmp_gt_i64_e32 vcc, 0, v[0:1]
	v_not_b32_e32 v1, v1
	v_ashrrev_i32_e32 v1, 31, v1
	v_and_b32_e32 v3, v3, v11
	v_xor_b32_e32 v11, vcc_hi, v1
	v_xor_b32_e32 v1, vcc_lo, v1
	v_and_b32_e32 v2, v2, v1
	v_lshlrev_b32_e32 v1, 28, v31
	v_cmp_gt_i64_e32 vcc, 0, v[0:1]
	v_not_b32_e32 v1, v1
	v_ashrrev_i32_e32 v1, 31, v1
	v_and_b32_e32 v3, v3, v11
	;; [unrolled: 8-line block ×6, first 2 shown]
	v_xor_b32_e32 v11, vcc_hi, v1
	v_xor_b32_e32 v1, vcc_lo, v1
	v_and_b32_e32 v2, v2, v1
	v_and_b32_e32 v3, v3, v11
	v_mbcnt_lo_u32_b32 v1, v2, 0
	v_mbcnt_hi_u32_b32 v25, v3, v1
	v_cmp_eq_u32_e32 vcc, 0, v25
	v_cmp_ne_u64_e64 s[0:1], 0, v[2:3]
	s_and_b64 s[2:3], s[0:1], vcc
	s_waitcnt lgkmcnt(0)
	s_barrier
	s_waitcnt lgkmcnt(0)
	; wave barrier
	s_and_saveexec_b64 s[0:1], s[2:3]
	s_cbranch_execz .LBB12_29
; %bb.28:
	v_bcnt_u32_b32 v1, v2, 0
	v_bcnt_u32_b32 v1, v3, v1
	ds_write_b32 v24, v1 offset:16
.LBB12_29:
	s_or_b64 exec, exec, s[0:1]
	v_lshlrev_b16_sdwa v1, v8, v30 dst_sel:DWORD dst_unused:UNUSED_PAD src0_sel:DWORD src1_sel:BYTE_0
	v_add_lshl_u32 v33, v10, v1, 2
	v_and_b32_e32 v1, 1, v30
	v_add_co_u32_e32 v2, vcc, -1, v1
	v_addc_co_u32_e64 v3, s[0:1], 0, -1, vcc
	v_cmp_ne_u32_e32 vcc, 0, v1
	v_xor_b32_e32 v1, vcc_hi, v3
	v_and_b32_e32 v3, exec_hi, v1
	v_lshlrev_b32_e32 v1, 30, v30
	v_xor_b32_e32 v2, vcc_lo, v2
	v_cmp_gt_i64_e32 vcc, 0, v[0:1]
	v_not_b32_e32 v1, v1
	v_ashrrev_i32_e32 v1, 31, v1
	v_and_b32_e32 v2, exec_lo, v2
	v_xor_b32_e32 v8, vcc_hi, v1
	v_xor_b32_e32 v1, vcc_lo, v1
	v_and_b32_e32 v2, v2, v1
	v_lshlrev_b32_e32 v1, 29, v30
	v_cmp_gt_i64_e32 vcc, 0, v[0:1]
	v_not_b32_e32 v1, v1
	v_ashrrev_i32_e32 v1, 31, v1
	v_and_b32_e32 v3, v3, v8
	v_xor_b32_e32 v8, vcc_hi, v1
	v_xor_b32_e32 v1, vcc_lo, v1
	v_and_b32_e32 v2, v2, v1
	v_lshlrev_b32_e32 v1, 28, v30
	v_cmp_gt_i64_e32 vcc, 0, v[0:1]
	v_not_b32_e32 v1, v1
	v_ashrrev_i32_e32 v1, 31, v1
	v_and_b32_e32 v3, v3, v8
	;; [unrolled: 8-line block ×5, first 2 shown]
	v_xor_b32_e32 v8, vcc_hi, v1
	v_xor_b32_e32 v1, vcc_lo, v1
	v_and_b32_e32 v2, v2, v1
	v_lshlrev_b32_e32 v1, 24, v30
	v_cmp_gt_i64_e32 vcc, 0, v[0:1]
	v_not_b32_e32 v0, v1
	v_ashrrev_i32_e32 v0, 31, v0
	v_xor_b32_e32 v1, vcc_hi, v0
	v_xor_b32_e32 v0, vcc_lo, v0
	; wave barrier
	ds_read_b32 v32, v33 offset:16
	v_and_b32_e32 v3, v3, v8
	v_and_b32_e32 v0, v2, v0
	;; [unrolled: 1-line block ×3, first 2 shown]
	v_mbcnt_lo_u32_b32 v2, v0, 0
	v_mbcnt_hi_u32_b32 v34, v1, v2
	v_cmp_eq_u32_e32 vcc, 0, v34
	v_cmp_ne_u64_e64 s[0:1], 0, v[0:1]
	s_and_b64 s[2:3], s[0:1], vcc
	; wave barrier
	s_and_saveexec_b64 s[0:1], s[2:3]
	s_cbranch_execz .LBB12_31
; %bb.30:
	v_bcnt_u32_b32 v0, v0, 0
	v_bcnt_u32_b32 v0, v1, v0
	s_waitcnt lgkmcnt(0)
	v_add_u32_e32 v0, v32, v0
	ds_write_b32 v33, v0 offset:16
.LBB12_31:
	s_or_b64 exec, exec, s[0:1]
	v_and_b32_e32 v1, 1, v29
	v_add_co_u32_e32 v2, vcc, -1, v1
	v_mov_b32_e32 v8, 2
	v_addc_co_u32_e64 v3, s[0:1], 0, -1, vcc
	v_cmp_ne_u32_e32 vcc, 0, v1
	v_lshlrev_b16_sdwa v0, v8, v29 dst_sel:DWORD dst_unused:UNUSED_PAD src0_sel:DWORD src1_sel:BYTE_0
	v_xor_b32_e32 v1, vcc_hi, v3
	v_add_lshl_u32 v36, v10, v0, 2
	v_mov_b32_e32 v0, 0
	v_and_b32_e32 v3, exec_hi, v1
	v_lshlrev_b32_e32 v1, 30, v29
	v_xor_b32_e32 v2, vcc_lo, v2
	v_cmp_gt_i64_e32 vcc, 0, v[0:1]
	v_not_b32_e32 v1, v1
	v_ashrrev_i32_e32 v1, 31, v1
	v_and_b32_e32 v2, exec_lo, v2
	v_xor_b32_e32 v11, vcc_hi, v1
	v_xor_b32_e32 v1, vcc_lo, v1
	v_and_b32_e32 v2, v2, v1
	v_lshlrev_b32_e32 v1, 29, v29
	v_cmp_gt_i64_e32 vcc, 0, v[0:1]
	v_not_b32_e32 v1, v1
	v_ashrrev_i32_e32 v1, 31, v1
	v_and_b32_e32 v3, v3, v11
	v_xor_b32_e32 v11, vcc_hi, v1
	v_xor_b32_e32 v1, vcc_lo, v1
	v_and_b32_e32 v2, v2, v1
	v_lshlrev_b32_e32 v1, 28, v29
	v_cmp_gt_i64_e32 vcc, 0, v[0:1]
	v_not_b32_e32 v1, v1
	v_ashrrev_i32_e32 v1, 31, v1
	v_and_b32_e32 v3, v3, v11
	;; [unrolled: 8-line block ×6, first 2 shown]
	v_xor_b32_e32 v11, vcc_hi, v1
	v_xor_b32_e32 v1, vcc_lo, v1
	; wave barrier
	ds_read_b32 v35, v36 offset:16
	v_and_b32_e32 v2, v2, v1
	v_and_b32_e32 v3, v3, v11
	v_mbcnt_lo_u32_b32 v1, v2, 0
	v_mbcnt_hi_u32_b32 v37, v3, v1
	v_cmp_eq_u32_e32 vcc, 0, v37
	v_cmp_ne_u64_e64 s[0:1], 0, v[2:3]
	s_and_b64 s[2:3], s[0:1], vcc
	; wave barrier
	s_and_saveexec_b64 s[0:1], s[2:3]
	s_cbranch_execz .LBB12_33
; %bb.32:
	v_bcnt_u32_b32 v1, v2, 0
	v_bcnt_u32_b32 v1, v3, v1
	s_waitcnt lgkmcnt(0)
	v_add_u32_e32 v1, v35, v1
	ds_write_b32 v36, v1 offset:16
.LBB12_33:
	s_or_b64 exec, exec, s[0:1]
	v_lshlrev_b16_sdwa v1, v8, v28 dst_sel:DWORD dst_unused:UNUSED_PAD src0_sel:DWORD src1_sel:BYTE_0
	v_add_lshl_u32 v39, v10, v1, 2
	v_and_b32_e32 v1, 1, v28
	v_add_co_u32_e32 v2, vcc, -1, v1
	v_addc_co_u32_e64 v3, s[0:1], 0, -1, vcc
	v_cmp_ne_u32_e32 vcc, 0, v1
	v_xor_b32_e32 v1, vcc_hi, v3
	v_and_b32_e32 v3, exec_hi, v1
	v_lshlrev_b32_e32 v1, 30, v28
	v_xor_b32_e32 v2, vcc_lo, v2
	v_cmp_gt_i64_e32 vcc, 0, v[0:1]
	v_not_b32_e32 v1, v1
	v_ashrrev_i32_e32 v1, 31, v1
	v_and_b32_e32 v2, exec_lo, v2
	v_xor_b32_e32 v8, vcc_hi, v1
	v_xor_b32_e32 v1, vcc_lo, v1
	v_and_b32_e32 v2, v2, v1
	v_lshlrev_b32_e32 v1, 29, v28
	v_cmp_gt_i64_e32 vcc, 0, v[0:1]
	v_not_b32_e32 v1, v1
	v_ashrrev_i32_e32 v1, 31, v1
	v_and_b32_e32 v3, v3, v8
	v_xor_b32_e32 v8, vcc_hi, v1
	v_xor_b32_e32 v1, vcc_lo, v1
	v_and_b32_e32 v2, v2, v1
	v_lshlrev_b32_e32 v1, 28, v28
	v_cmp_gt_i64_e32 vcc, 0, v[0:1]
	v_not_b32_e32 v1, v1
	v_ashrrev_i32_e32 v1, 31, v1
	v_and_b32_e32 v3, v3, v8
	v_xor_b32_e32 v8, vcc_hi, v1
	v_xor_b32_e32 v1, vcc_lo, v1
	v_and_b32_e32 v2, v2, v1
	v_lshlrev_b32_e32 v1, 27, v28
	v_cmp_gt_i64_e32 vcc, 0, v[0:1]
	v_not_b32_e32 v1, v1
	v_ashrrev_i32_e32 v1, 31, v1
	v_and_b32_e32 v3, v3, v8
	v_xor_b32_e32 v8, vcc_hi, v1
	v_xor_b32_e32 v1, vcc_lo, v1
	v_and_b32_e32 v2, v2, v1
	v_lshlrev_b32_e32 v1, 26, v28
	v_cmp_gt_i64_e32 vcc, 0, v[0:1]
	v_not_b32_e32 v1, v1
	v_ashrrev_i32_e32 v1, 31, v1
	v_and_b32_e32 v3, v3, v8
	v_xor_b32_e32 v8, vcc_hi, v1
	v_xor_b32_e32 v1, vcc_lo, v1
	v_and_b32_e32 v2, v2, v1
	v_lshlrev_b32_e32 v1, 25, v28
	v_cmp_gt_i64_e32 vcc, 0, v[0:1]
	v_not_b32_e32 v1, v1
	v_ashrrev_i32_e32 v1, 31, v1
	v_and_b32_e32 v3, v3, v8
	v_xor_b32_e32 v8, vcc_hi, v1
	v_xor_b32_e32 v1, vcc_lo, v1
	v_and_b32_e32 v2, v2, v1
	v_lshlrev_b32_e32 v1, 24, v28
	v_cmp_gt_i64_e32 vcc, 0, v[0:1]
	v_not_b32_e32 v0, v1
	v_ashrrev_i32_e32 v0, 31, v0
	v_xor_b32_e32 v1, vcc_hi, v0
	v_xor_b32_e32 v0, vcc_lo, v0
	; wave barrier
	ds_read_b32 v38, v39 offset:16
	v_and_b32_e32 v3, v3, v8
	v_and_b32_e32 v0, v2, v0
	v_and_b32_e32 v1, v3, v1
	v_mbcnt_lo_u32_b32 v2, v0, 0
	v_mbcnt_hi_u32_b32 v40, v1, v2
	v_cmp_eq_u32_e32 vcc, 0, v40
	v_cmp_ne_u64_e64 s[0:1], 0, v[0:1]
	s_and_b64 s[2:3], s[0:1], vcc
	; wave barrier
	s_and_saveexec_b64 s[0:1], s[2:3]
	s_cbranch_execz .LBB12_35
; %bb.34:
	v_bcnt_u32_b32 v0, v0, 0
	v_bcnt_u32_b32 v0, v1, v0
	s_waitcnt lgkmcnt(0)
	v_add_u32_e32 v0, v38, v0
	ds_write_b32 v39, v0 offset:16
.LBB12_35:
	s_or_b64 exec, exec, s[0:1]
	v_and_b32_e32 v1, 1, v27
	v_add_co_u32_e32 v2, vcc, -1, v1
	v_mov_b32_e32 v8, 2
	v_addc_co_u32_e64 v3, s[0:1], 0, -1, vcc
	v_cmp_ne_u32_e32 vcc, 0, v1
	v_lshlrev_b16_sdwa v0, v8, v27 dst_sel:DWORD dst_unused:UNUSED_PAD src0_sel:DWORD src1_sel:BYTE_0
	v_xor_b32_e32 v1, vcc_hi, v3
	v_add_lshl_u32 v42, v10, v0, 2
	v_mov_b32_e32 v0, 0
	v_and_b32_e32 v3, exec_hi, v1
	v_lshlrev_b32_e32 v1, 30, v27
	v_xor_b32_e32 v2, vcc_lo, v2
	v_cmp_gt_i64_e32 vcc, 0, v[0:1]
	v_not_b32_e32 v1, v1
	v_ashrrev_i32_e32 v1, 31, v1
	v_and_b32_e32 v2, exec_lo, v2
	v_xor_b32_e32 v11, vcc_hi, v1
	v_xor_b32_e32 v1, vcc_lo, v1
	v_and_b32_e32 v2, v2, v1
	v_lshlrev_b32_e32 v1, 29, v27
	v_cmp_gt_i64_e32 vcc, 0, v[0:1]
	v_not_b32_e32 v1, v1
	v_ashrrev_i32_e32 v1, 31, v1
	v_and_b32_e32 v3, v3, v11
	v_xor_b32_e32 v11, vcc_hi, v1
	v_xor_b32_e32 v1, vcc_lo, v1
	v_and_b32_e32 v2, v2, v1
	v_lshlrev_b32_e32 v1, 28, v27
	v_cmp_gt_i64_e32 vcc, 0, v[0:1]
	v_not_b32_e32 v1, v1
	v_ashrrev_i32_e32 v1, 31, v1
	v_and_b32_e32 v3, v3, v11
	;; [unrolled: 8-line block ×6, first 2 shown]
	v_xor_b32_e32 v11, vcc_hi, v1
	v_xor_b32_e32 v1, vcc_lo, v1
	; wave barrier
	ds_read_b32 v41, v42 offset:16
	v_and_b32_e32 v2, v2, v1
	v_and_b32_e32 v3, v3, v11
	v_mbcnt_lo_u32_b32 v1, v2, 0
	v_mbcnt_hi_u32_b32 v43, v3, v1
	v_cmp_eq_u32_e32 vcc, 0, v43
	v_cmp_ne_u64_e64 s[0:1], 0, v[2:3]
	s_and_b64 s[2:3], s[0:1], vcc
	; wave barrier
	s_and_saveexec_b64 s[0:1], s[2:3]
	s_cbranch_execz .LBB12_37
; %bb.36:
	v_bcnt_u32_b32 v1, v2, 0
	v_bcnt_u32_b32 v1, v3, v1
	s_waitcnt lgkmcnt(0)
	v_add_u32_e32 v1, v41, v1
	ds_write_b32 v42, v1 offset:16
.LBB12_37:
	s_or_b64 exec, exec, s[0:1]
	v_lshlrev_b16_sdwa v1, v8, v26 dst_sel:DWORD dst_unused:UNUSED_PAD src0_sel:DWORD src1_sel:BYTE_0
	v_add_lshl_u32 v45, v10, v1, 2
	v_and_b32_e32 v1, 1, v26
	v_add_co_u32_e32 v3, vcc, -1, v1
	v_addc_co_u32_e64 v8, s[0:1], 0, -1, vcc
	v_cmp_ne_u32_e32 vcc, 0, v1
	v_xor_b32_e32 v1, vcc_hi, v8
	v_and_b32_e32 v8, exec_hi, v1
	v_lshlrev_b32_e32 v1, 30, v26
	v_xor_b32_e32 v3, vcc_lo, v3
	v_cmp_gt_i64_e32 vcc, 0, v[0:1]
	v_not_b32_e32 v1, v1
	v_ashrrev_i32_e32 v1, 31, v1
	v_and_b32_e32 v3, exec_lo, v3
	v_xor_b32_e32 v11, vcc_hi, v1
	v_xor_b32_e32 v1, vcc_lo, v1
	v_and_b32_e32 v3, v3, v1
	v_lshlrev_b32_e32 v1, 29, v26
	v_cmp_gt_i64_e32 vcc, 0, v[0:1]
	v_not_b32_e32 v1, v1
	v_ashrrev_i32_e32 v1, 31, v1
	v_and_b32_e32 v8, v8, v11
	v_xor_b32_e32 v11, vcc_hi, v1
	v_xor_b32_e32 v1, vcc_lo, v1
	v_and_b32_e32 v3, v3, v1
	v_lshlrev_b32_e32 v1, 28, v26
	v_cmp_gt_i64_e32 vcc, 0, v[0:1]
	v_not_b32_e32 v1, v1
	v_ashrrev_i32_e32 v1, 31, v1
	v_and_b32_e32 v8, v8, v11
	;; [unrolled: 8-line block ×5, first 2 shown]
	v_xor_b32_e32 v11, vcc_hi, v1
	v_xor_b32_e32 v1, vcc_lo, v1
	v_and_b32_e32 v3, v3, v1
	v_lshlrev_b32_e32 v1, 24, v26
	v_cmp_gt_i64_e32 vcc, 0, v[0:1]
	v_not_b32_e32 v0, v1
	v_ashrrev_i32_e32 v0, 31, v0
	v_xor_b32_e32 v1, vcc_hi, v0
	v_xor_b32_e32 v0, vcc_lo, v0
	; wave barrier
	ds_read_b32 v44, v45 offset:16
	v_and_b32_e32 v8, v8, v11
	v_and_b32_e32 v0, v3, v0
	;; [unrolled: 1-line block ×3, first 2 shown]
	v_mbcnt_lo_u32_b32 v3, v0, 0
	v_mbcnt_hi_u32_b32 v46, v1, v3
	v_cmp_eq_u32_e32 vcc, 0, v46
	v_cmp_ne_u64_e64 s[0:1], 0, v[0:1]
	v_and_b32_e32 v2, 0x3c0, v6
	s_and_b64 s[2:3], s[0:1], vcc
	; wave barrier
	s_and_saveexec_b64 s[0:1], s[2:3]
	s_cbranch_execz .LBB12_39
; %bb.38:
	v_bcnt_u32_b32 v0, v0, 0
	v_bcnt_u32_b32 v0, v1, v0
	s_waitcnt lgkmcnt(0)
	v_add_u32_e32 v0, v44, v0
	ds_write_b32 v45, v0 offset:16
.LBB12_39:
	s_or_b64 exec, exec, s[0:1]
	v_and_b32_e32 v1, 1, v9
	v_min_u32_e32 v8, 0xc0, v2
	v_add_co_u32_e32 v2, vcc, -1, v1
	v_mov_b32_e32 v0, 2
	v_addc_co_u32_e64 v3, s[0:1], 0, -1, vcc
	v_cmp_ne_u32_e32 vcc, 0, v1
	v_lshlrev_b16_sdwa v0, v0, v9 dst_sel:DWORD dst_unused:UNUSED_PAD src0_sel:DWORD src1_sel:BYTE_0
	v_xor_b32_e32 v1, vcc_hi, v3
	v_add_lshl_u32 v48, v10, v0, 2
	v_mov_b32_e32 v0, 0
	v_and_b32_e32 v3, exec_hi, v1
	v_lshlrev_b32_e32 v1, 30, v9
	v_xor_b32_e32 v2, vcc_lo, v2
	v_cmp_gt_i64_e32 vcc, 0, v[0:1]
	v_not_b32_e32 v1, v1
	v_ashrrev_i32_e32 v1, 31, v1
	v_and_b32_e32 v2, exec_lo, v2
	v_xor_b32_e32 v11, vcc_hi, v1
	v_xor_b32_e32 v1, vcc_lo, v1
	v_and_b32_e32 v2, v2, v1
	v_lshlrev_b32_e32 v1, 29, v9
	v_cmp_gt_i64_e32 vcc, 0, v[0:1]
	v_not_b32_e32 v1, v1
	v_ashrrev_i32_e32 v1, 31, v1
	v_and_b32_e32 v3, v3, v11
	v_xor_b32_e32 v11, vcc_hi, v1
	v_xor_b32_e32 v1, vcc_lo, v1
	v_and_b32_e32 v2, v2, v1
	v_lshlrev_b32_e32 v1, 28, v9
	v_cmp_gt_i64_e32 vcc, 0, v[0:1]
	v_not_b32_e32 v1, v1
	v_ashrrev_i32_e32 v1, 31, v1
	v_and_b32_e32 v3, v3, v11
	v_xor_b32_e32 v11, vcc_hi, v1
	v_xor_b32_e32 v1, vcc_lo, v1
	v_and_b32_e32 v2, v2, v1
	v_lshlrev_b32_e32 v1, 27, v9
	v_cmp_gt_i64_e32 vcc, 0, v[0:1]
	v_not_b32_e32 v1, v1
	v_ashrrev_i32_e32 v1, 31, v1
	v_and_b32_e32 v3, v3, v11
	v_xor_b32_e32 v11, vcc_hi, v1
	v_xor_b32_e32 v1, vcc_lo, v1
	v_and_b32_e32 v2, v2, v1
	v_lshlrev_b32_e32 v1, 26, v9
	v_cmp_gt_i64_e32 vcc, 0, v[0:1]
	v_not_b32_e32 v1, v1
	v_ashrrev_i32_e32 v1, 31, v1
	v_and_b32_e32 v3, v3, v11
	v_xor_b32_e32 v11, vcc_hi, v1
	v_xor_b32_e32 v1, vcc_lo, v1
	v_and_b32_e32 v2, v2, v1
	v_lshlrev_b32_e32 v1, 25, v9
	v_cmp_gt_i64_e32 vcc, 0, v[0:1]
	v_not_b32_e32 v1, v1
	v_ashrrev_i32_e32 v1, 31, v1
	v_and_b32_e32 v3, v3, v11
	v_xor_b32_e32 v11, vcc_hi, v1
	v_xor_b32_e32 v1, vcc_lo, v1
	v_and_b32_e32 v2, v2, v1
	v_lshlrev_b32_e32 v1, 24, v9
	v_cmp_gt_i64_e32 vcc, 0, v[0:1]
	v_not_b32_e32 v0, v1
	v_ashrrev_i32_e32 v0, 31, v0
	v_xor_b32_e32 v1, vcc_hi, v0
	v_xor_b32_e32 v0, vcc_lo, v0
	; wave barrier
	ds_read_b32 v47, v48 offset:16
	v_and_b32_e32 v3, v3, v11
	v_and_b32_e32 v0, v2, v0
	;; [unrolled: 1-line block ×3, first 2 shown]
	v_mbcnt_lo_u32_b32 v2, v0, 0
	v_mbcnt_hi_u32_b32 v49, v1, v2
	v_cmp_eq_u32_e32 vcc, 0, v49
	v_cmp_ne_u64_e64 s[0:1], 0, v[0:1]
	s_and_b64 s[2:3], s[0:1], vcc
	; wave barrier
	s_and_saveexec_b64 s[0:1], s[2:3]
	s_cbranch_execz .LBB12_41
; %bb.40:
	v_bcnt_u32_b32 v0, v0, 0
	v_bcnt_u32_b32 v0, v1, v0
	s_waitcnt lgkmcnt(0)
	v_add_u32_e32 v0, v47, v0
	ds_write_b32 v48, v0 offset:16
.LBB12_41:
	s_or_b64 exec, exec, s[0:1]
	; wave barrier
	s_waitcnt lgkmcnt(0)
	s_barrier
	ds_read2_b64 v[0:3], v14 offset0:2 offset1:3
	v_or_b32_e32 v8, 63, v8
	v_cmp_eq_u32_e32 vcc, v8, v6
	v_cmp_eq_u32_e64 s[6:7], 0, v22
	v_cmp_lt_u32_e64 s[8:9], 1, v22
	s_waitcnt lgkmcnt(0)
	v_add_u32_e32 v8, v1, v0
	v_add3_u32 v3, v8, v2, v3
	v_cmp_lt_u32_e64 s[12:13], 3, v22
	v_cmp_lt_u32_e64 s[14:15], 7, v22
	v_mov_b32_dpp v8, v3 row_shr:1 row_mask:0xf bank_mask:0xf
	v_cndmask_b32_e64 v8, v8, 0, s[6:7]
	v_add_u32_e32 v3, v8, v3
	v_bfe_i32 v11, v17, 4, 1
	v_cmp_lt_u32_e64 s[18:19], 31, v17
	v_mov_b32_dpp v8, v3 row_shr:2 row_mask:0xf bank_mask:0xf
	v_cndmask_b32_e64 v8, 0, v8, s[8:9]
	v_add_u32_e32 v3, v3, v8
	v_cmp_eq_u32_e64 s[0:1], 0, v23
	s_nop 0
	v_mov_b32_dpp v8, v3 row_shr:4 row_mask:0xf bank_mask:0xf
	v_cndmask_b32_e64 v8, 0, v8, s[12:13]
	v_add_u32_e32 v3, v3, v8
	s_nop 1
	v_mov_b32_dpp v8, v3 row_shr:8 row_mask:0xf bank_mask:0xf
	v_cndmask_b32_e64 v8, 0, v8, s[14:15]
	v_add_u32_e32 v3, v3, v8
	s_nop 1
	v_mov_b32_dpp v8, v3 row_bcast:15 row_mask:0xf bank_mask:0xf
	v_and_b32_e32 v8, v11, v8
	v_add_u32_e32 v3, v3, v8
	s_nop 1
	v_mov_b32_dpp v8, v3 row_bcast:31 row_mask:0xf bank_mask:0xf
	v_cndmask_b32_e64 v8, 0, v8, s[18:19]
	v_add_u32_e32 v3, v3, v8
	s_and_saveexec_b64 s[2:3], vcc
	s_cbranch_execz .LBB12_43
; %bb.42:
	ds_write_b32 v15, v3
.LBB12_43:
	s_or_b64 exec, exec, s[2:3]
	v_cmp_gt_u32_e64 s[10:11], 4, v6
	v_cmp_eq_u32_e64 s[4:5], 0, v21
	v_cmp_lt_u32_e64 s[2:3], 1, v21
	v_add_u32_e32 v11, v14, v20
	s_waitcnt lgkmcnt(0)
	s_barrier
	s_and_saveexec_b64 s[16:17], s[10:11]
	s_cbranch_execz .LBB12_45
; %bb.44:
	ds_read_b32 v8, v11
	s_waitcnt lgkmcnt(0)
	s_nop 0
	v_mov_b32_dpp v12, v8 row_shr:1 row_mask:0xf bank_mask:0xf
	v_cndmask_b32_e64 v12, v12, 0, s[4:5]
	v_add_u32_e32 v8, v12, v8
	s_nop 1
	v_mov_b32_dpp v12, v8 row_shr:2 row_mask:0xf bank_mask:0xf
	v_cndmask_b32_e64 v12, 0, v12, s[2:3]
	v_add_u32_e32 v8, v8, v12
	ds_write_b32 v11, v8
.LBB12_45:
	s_or_b64 exec, exec, s[16:17]
	v_cmp_lt_u32_e64 s[16:17], 63, v6
	v_add_u32_e32 v12, -4, v15
	v_mov_b32_e32 v8, 0
	v_mov_b32_e32 v20, 0
	s_waitcnt lgkmcnt(0)
	s_barrier
	s_and_saveexec_b64 s[20:21], s[16:17]
	s_cbranch_execz .LBB12_47
; %bb.46:
	ds_read_b32 v20, v12
.LBB12_47:
	s_or_b64 exec, exec, s[20:21]
	v_cmp_lt_i32_e64 s[20:21], v18, v19
	v_cndmask_b32_e64 v13, v18, v17, s[20:21]
	v_lshlrev_b32_e32 v13, 2, v13
	s_waitcnt lgkmcnt(0)
	v_add_u32_e32 v3, v20, v3
	ds_bpermute_b32 v3, v13, v3
	v_cmp_eq_u32_e64 s[20:21], 0, v17
	v_cmp_eq_u32_e64 s[22:23], 0, v6
	s_mov_b32 s24, 0
	s_mov_b32 s25, s24
	s_waitcnt lgkmcnt(0)
	v_cndmask_b32_e64 v3, v3, v20, s[20:21]
	v_cndmask_b32_e64 v18, v3, 0, s[22:23]
	v_add_u32_e32 v19, v18, v0
	v_add_u32_e32 v0, v19, v1
	;; [unrolled: 1-line block ×3, first 2 shown]
	ds_write2_b64 v14, v[18:19], v[0:1] offset0:2 offset1:3
	s_waitcnt lgkmcnt(0)
	s_barrier
	ds_read_b32 v0, v24 offset:16
	ds_read_b32 v1, v33 offset:16
	;; [unrolled: 1-line block ×7, first 2 shown]
	v_lshlrev_b32_e32 v19, 1, v25
	s_waitcnt lgkmcnt(6)
	v_lshl_add_u32 v0, v0, 1, v19
	s_waitcnt lgkmcnt(0)
	s_barrier
	ds_write_b16 v0, v31
	v_lshlrev_b32_e32 v0, 1, v34
	v_lshlrev_b32_e32 v19, 1, v32
	v_lshlrev_b32_e32 v1, 1, v1
	v_add3_u32 v0, v0, v19, v1
	ds_write_b16 v0, v30
	v_lshlrev_b32_e32 v0, 1, v37
	v_lshlrev_b32_e32 v1, 1, v35
	v_lshlrev_b32_e32 v2, 1, v2
	v_add3_u32 v0, v0, v1, v2
	;; [unrolled: 5-line block ×6, first 2 shown]
	s_mov_b32 s26, s24
	s_mov_b32 s27, s24
	ds_write_b16 v0, v9
	v_pk_mov_b32 v[0:1], s[24:25], s[24:25] op_sel:[0,1]
	v_pk_mov_b32 v[2:3], s[26:27], s[26:27] op_sel:[0,1]
	v_mov_b32_e32 v23, 2
	s_waitcnt lgkmcnt(0)
	s_barrier
	ds_read_u16 v22, v16
	ds_read_u16 v21, v16 offset:128
	ds_read_u16 v20, v16 offset:256
	;; [unrolled: 1-line block ×6, first 2 shown]
	s_waitcnt lgkmcnt(0)
	s_barrier
	ds_write2_b64 v14, v[0:1], v[2:3] offset0:2 offset1:3
	v_lshlrev_b16_sdwa v0, v23, v22 dst_sel:DWORD dst_unused:UNUSED_PAD src0_sel:DWORD src1_sel:BYTE_1
	v_mov_b32_e32 v3, 1
	v_add_lshl_u32 v16, v10, v0, 2
	v_and_b32_sdwa v0, v22, v3 dst_sel:DWORD dst_unused:UNUSED_PAD src0_sel:BYTE_1 src1_sel:DWORD
	v_add_co_u32_e64 v1, s[24:25], -1, v0
	v_addc_co_u32_e64 v2, s[24:25], 0, -1, s[24:25]
	v_cmp_ne_u32_e64 s[24:25], 0, v0
	v_xor_b32_e32 v0, s25, v2
	v_mov_b32_e32 v2, 30
	v_lshlrev_b32_sdwa v9, v2, v22 dst_sel:DWORD dst_unused:UNUSED_PAD src0_sel:DWORD src1_sel:BYTE_1
	v_xor_b32_e32 v1, s24, v1
	v_cmp_gt_i64_e64 s[24:25], 0, v[8:9]
	v_not_b32_e32 v9, v9
	v_ashrrev_i32_e32 v9, 31, v9
	v_and_b32_e32 v0, exec_hi, v0
	v_xor_b32_e32 v24, s25, v9
	v_and_b32_e32 v1, exec_lo, v1
	v_xor_b32_e32 v9, s24, v9
	v_and_b32_e32 v0, v0, v24
	v_mov_b32_e32 v24, 29
	v_and_b32_e32 v1, v1, v9
	v_lshlrev_b32_sdwa v9, v24, v22 dst_sel:DWORD dst_unused:UNUSED_PAD src0_sel:DWORD src1_sel:BYTE_1
	v_cmp_gt_i64_e64 s[24:25], 0, v[8:9]
	v_not_b32_e32 v9, v9
	v_ashrrev_i32_e32 v9, 31, v9
	v_xor_b32_e32 v25, s25, v9
	v_xor_b32_e32 v9, s24, v9
	v_and_b32_e32 v0, v0, v25
	v_mov_b32_e32 v25, 28
	v_and_b32_e32 v1, v1, v9
	v_lshlrev_b32_sdwa v9, v25, v22 dst_sel:DWORD dst_unused:UNUSED_PAD src0_sel:DWORD src1_sel:BYTE_1
	v_cmp_gt_i64_e64 s[24:25], 0, v[8:9]
	v_not_b32_e32 v9, v9
	v_ashrrev_i32_e32 v9, 31, v9
	v_xor_b32_e32 v26, s25, v9
	;; [unrolled: 9-line block ×5, first 2 shown]
	v_xor_b32_e32 v9, s24, v9
	v_and_b32_e32 v0, v0, v29
	v_mov_b32_e32 v29, 24
	v_and_b32_e32 v30, v1, v9
	v_lshlrev_b32_sdwa v9, v29, v22 dst_sel:DWORD dst_unused:UNUSED_PAD src0_sel:DWORD src1_sel:BYTE_1
	v_not_b32_e32 v1, v9
	v_cmp_gt_i64_e64 s[24:25], 0, v[8:9]
	v_ashrrev_i32_e32 v1, 31, v1
	v_xor_b32_e32 v8, s25, v1
	v_xor_b32_e32 v9, s24, v1
	v_and_b32_e32 v1, v0, v8
	v_and_b32_e32 v0, v30, v9
	v_mbcnt_lo_u32_b32 v8, v0, 0
	v_mbcnt_hi_u32_b32 v8, v1, v8
	v_cmp_eq_u32_e64 s[24:25], 0, v8
	v_cmp_ne_u64_e64 s[26:27], 0, v[0:1]
	s_and_b64 s[26:27], s[26:27], s[24:25]
	s_waitcnt lgkmcnt(0)
	s_barrier
	s_waitcnt lgkmcnt(0)
	; wave barrier
	s_and_saveexec_b64 s[24:25], s[26:27]
	s_cbranch_execz .LBB12_49
; %bb.48:
	v_bcnt_u32_b32 v0, v0, 0
	v_bcnt_u32_b32 v0, v1, v0
	ds_write_b32 v16, v0 offset:16
.LBB12_49:
	s_or_b64 exec, exec, s[24:25]
	v_and_b32_sdwa v1, v21, v3 dst_sel:DWORD dst_unused:UNUSED_PAD src0_sel:BYTE_1 src1_sel:DWORD
	v_add_co_u32_e64 v3, s[24:25], -1, v1
	v_addc_co_u32_e64 v30, s[24:25], 0, -1, s[24:25]
	v_cmp_ne_u32_e64 s[24:25], 0, v1
	v_lshlrev_b16_sdwa v0, v23, v21 dst_sel:DWORD dst_unused:UNUSED_PAD src0_sel:DWORD src1_sel:BYTE_1
	v_xor_b32_e32 v1, s25, v30
	v_add_lshl_u32 v23, v10, v0, 2
	v_mov_b32_e32 v0, 0
	v_and_b32_e32 v30, exec_hi, v1
	v_lshlrev_b32_sdwa v1, v2, v21 dst_sel:DWORD dst_unused:UNUSED_PAD src0_sel:DWORD src1_sel:BYTE_1
	v_xor_b32_e32 v3, s24, v3
	v_cmp_gt_i64_e64 s[24:25], 0, v[0:1]
	v_not_b32_e32 v1, v1
	v_ashrrev_i32_e32 v1, 31, v1
	v_and_b32_e32 v3, exec_lo, v3
	v_xor_b32_e32 v2, s25, v1
	v_xor_b32_e32 v1, s24, v1
	v_and_b32_e32 v3, v3, v1
	v_lshlrev_b32_sdwa v1, v24, v21 dst_sel:DWORD dst_unused:UNUSED_PAD src0_sel:DWORD src1_sel:BYTE_1
	v_cmp_gt_i64_e64 s[24:25], 0, v[0:1]
	v_not_b32_e32 v1, v1
	v_ashrrev_i32_e32 v1, 31, v1
	v_xor_b32_e32 v24, s25, v1
	v_xor_b32_e32 v1, s24, v1
	v_and_b32_e32 v3, v3, v1
	v_lshlrev_b32_sdwa v1, v25, v21 dst_sel:DWORD dst_unused:UNUSED_PAD src0_sel:DWORD src1_sel:BYTE_1
	v_cmp_gt_i64_e64 s[24:25], 0, v[0:1]
	v_not_b32_e32 v1, v1
	v_and_b32_e32 v2, v30, v2
	v_ashrrev_i32_e32 v1, 31, v1
	v_and_b32_e32 v2, v2, v24
	v_xor_b32_e32 v24, s25, v1
	v_xor_b32_e32 v1, s24, v1
	v_and_b32_e32 v3, v3, v1
	v_lshlrev_b32_sdwa v1, v26, v21 dst_sel:DWORD dst_unused:UNUSED_PAD src0_sel:DWORD src1_sel:BYTE_1
	v_cmp_gt_i64_e64 s[24:25], 0, v[0:1]
	v_not_b32_e32 v1, v1
	v_ashrrev_i32_e32 v1, 31, v1
	v_and_b32_e32 v2, v2, v24
	v_xor_b32_e32 v24, s25, v1
	v_xor_b32_e32 v1, s24, v1
	v_and_b32_e32 v3, v3, v1
	v_lshlrev_b32_sdwa v1, v27, v21 dst_sel:DWORD dst_unused:UNUSED_PAD src0_sel:DWORD src1_sel:BYTE_1
	v_cmp_gt_i64_e64 s[24:25], 0, v[0:1]
	v_not_b32_e32 v1, v1
	;; [unrolled: 8-line block ×3, first 2 shown]
	v_ashrrev_i32_e32 v1, 31, v1
	v_and_b32_e32 v2, v2, v24
	v_xor_b32_e32 v24, s25, v1
	v_xor_b32_e32 v1, s24, v1
	v_and_b32_e32 v2, v2, v24
	v_and_b32_e32 v24, v3, v1
	v_lshlrev_b32_sdwa v1, v29, v21 dst_sel:DWORD dst_unused:UNUSED_PAD src0_sel:DWORD src1_sel:BYTE_1
	v_cmp_gt_i64_e64 s[24:25], 0, v[0:1]
	v_not_b32_e32 v1, v1
	v_ashrrev_i32_e32 v1, 31, v1
	v_xor_b32_e32 v3, s25, v1
	v_xor_b32_e32 v1, s24, v1
	; wave barrier
	ds_read_b32 v9, v23 offset:16
	v_and_b32_e32 v3, v2, v3
	v_and_b32_e32 v2, v24, v1
	v_mbcnt_lo_u32_b32 v1, v2, 0
	v_mbcnt_hi_u32_b32 v24, v3, v1
	v_cmp_eq_u32_e64 s[24:25], 0, v24
	v_cmp_ne_u64_e64 s[26:27], 0, v[2:3]
	s_and_b64 s[26:27], s[26:27], s[24:25]
	; wave barrier
	s_and_saveexec_b64 s[24:25], s[26:27]
	s_cbranch_execz .LBB12_51
; %bb.50:
	v_bcnt_u32_b32 v1, v2, 0
	v_bcnt_u32_b32 v1, v3, v1
	s_waitcnt lgkmcnt(0)
	v_add_u32_e32 v1, v9, v1
	ds_write_b32 v23, v1 offset:16
.LBB12_51:
	s_or_b64 exec, exec, s[24:25]
	v_mov_b32_e32 v2, 2
	v_lshlrev_b16_sdwa v1, v2, v20 dst_sel:DWORD dst_unused:UNUSED_PAD src0_sel:DWORD src1_sel:BYTE_1
	v_mov_b32_e32 v30, 1
	v_add_lshl_u32 v26, v10, v1, 2
	v_and_b32_sdwa v1, v20, v30 dst_sel:DWORD dst_unused:UNUSED_PAD src0_sel:BYTE_1 src1_sel:DWORD
	v_add_co_u32_e64 v3, s[24:25], -1, v1
	v_addc_co_u32_e64 v27, s[24:25], 0, -1, s[24:25]
	v_cmp_ne_u32_e64 s[24:25], 0, v1
	v_xor_b32_e32 v3, s24, v3
	v_xor_b32_e32 v1, s25, v27
	v_and_b32_e32 v28, exec_lo, v3
	v_mov_b32_e32 v3, 30
	v_and_b32_e32 v27, exec_hi, v1
	v_lshlrev_b32_sdwa v1, v3, v20 dst_sel:DWORD dst_unused:UNUSED_PAD src0_sel:DWORD src1_sel:BYTE_1
	v_cmp_gt_i64_e64 s[24:25], 0, v[0:1]
	v_not_b32_e32 v1, v1
	v_ashrrev_i32_e32 v1, 31, v1
	v_xor_b32_e32 v29, s25, v1
	v_xor_b32_e32 v1, s24, v1
	v_mov_b32_e32 v31, 29
	v_and_b32_e32 v28, v28, v1
	v_lshlrev_b32_sdwa v1, v31, v20 dst_sel:DWORD dst_unused:UNUSED_PAD src0_sel:DWORD src1_sel:BYTE_1
	v_cmp_gt_i64_e64 s[24:25], 0, v[0:1]
	v_not_b32_e32 v1, v1
	v_ashrrev_i32_e32 v1, 31, v1
	v_and_b32_e32 v27, v27, v29
	v_xor_b32_e32 v29, s25, v1
	v_xor_b32_e32 v1, s24, v1
	v_mov_b32_e32 v32, 28
	v_and_b32_e32 v28, v28, v1
	v_lshlrev_b32_sdwa v1, v32, v20 dst_sel:DWORD dst_unused:UNUSED_PAD src0_sel:DWORD src1_sel:BYTE_1
	v_cmp_gt_i64_e64 s[24:25], 0, v[0:1]
	v_not_b32_e32 v1, v1
	v_ashrrev_i32_e32 v1, 31, v1
	v_and_b32_e32 v27, v27, v29
	;; [unrolled: 9-line block ×5, first 2 shown]
	v_xor_b32_e32 v29, s25, v1
	v_xor_b32_e32 v1, s24, v1
	v_mov_b32_e32 v36, 24
	v_and_b32_e32 v28, v28, v1
	v_lshlrev_b32_sdwa v1, v36, v20 dst_sel:DWORD dst_unused:UNUSED_PAD src0_sel:DWORD src1_sel:BYTE_1
	v_cmp_gt_i64_e64 s[24:25], 0, v[0:1]
	v_not_b32_e32 v0, v1
	v_ashrrev_i32_e32 v0, 31, v0
	v_xor_b32_e32 v1, s25, v0
	v_xor_b32_e32 v0, s24, v0
	; wave barrier
	ds_read_b32 v25, v26 offset:16
	v_and_b32_e32 v27, v27, v29
	v_and_b32_e32 v0, v28, v0
	;; [unrolled: 1-line block ×3, first 2 shown]
	v_mbcnt_lo_u32_b32 v27, v0, 0
	v_mbcnt_hi_u32_b32 v27, v1, v27
	v_cmp_eq_u32_e64 s[24:25], 0, v27
	v_cmp_ne_u64_e64 s[26:27], 0, v[0:1]
	s_and_b64 s[26:27], s[26:27], s[24:25]
	; wave barrier
	s_and_saveexec_b64 s[24:25], s[26:27]
	s_cbranch_execz .LBB12_53
; %bb.52:
	v_bcnt_u32_b32 v0, v0, 0
	v_bcnt_u32_b32 v0, v1, v0
	s_waitcnt lgkmcnt(0)
	v_add_u32_e32 v0, v25, v0
	ds_write_b32 v26, v0 offset:16
.LBB12_53:
	s_or_b64 exec, exec, s[24:25]
	v_and_b32_sdwa v1, v19, v30 dst_sel:DWORD dst_unused:UNUSED_PAD src0_sel:BYTE_1 src1_sel:DWORD
	v_lshlrev_b16_sdwa v0, v2, v19 dst_sel:DWORD dst_unused:UNUSED_PAD src0_sel:DWORD src1_sel:BYTE_1
	v_add_co_u32_e64 v2, s[24:25], -1, v1
	v_addc_co_u32_e64 v30, s[24:25], 0, -1, s[24:25]
	v_cmp_ne_u32_e64 s[24:25], 0, v1
	v_xor_b32_e32 v1, s25, v30
	v_add_lshl_u32 v29, v10, v0, 2
	v_mov_b32_e32 v0, 0
	v_and_b32_e32 v30, exec_hi, v1
	v_lshlrev_b32_sdwa v1, v3, v19 dst_sel:DWORD dst_unused:UNUSED_PAD src0_sel:DWORD src1_sel:BYTE_1
	v_xor_b32_e32 v2, s24, v2
	v_cmp_gt_i64_e64 s[24:25], 0, v[0:1]
	v_not_b32_e32 v1, v1
	v_ashrrev_i32_e32 v1, 31, v1
	v_and_b32_e32 v2, exec_lo, v2
	v_xor_b32_e32 v3, s25, v1
	v_xor_b32_e32 v1, s24, v1
	v_and_b32_e32 v2, v2, v1
	v_lshlrev_b32_sdwa v1, v31, v19 dst_sel:DWORD dst_unused:UNUSED_PAD src0_sel:DWORD src1_sel:BYTE_1
	v_cmp_gt_i64_e64 s[24:25], 0, v[0:1]
	v_not_b32_e32 v1, v1
	v_ashrrev_i32_e32 v1, 31, v1
	v_and_b32_e32 v3, v30, v3
	v_xor_b32_e32 v30, s25, v1
	v_xor_b32_e32 v1, s24, v1
	v_and_b32_e32 v2, v2, v1
	v_lshlrev_b32_sdwa v1, v32, v19 dst_sel:DWORD dst_unused:UNUSED_PAD src0_sel:DWORD src1_sel:BYTE_1
	v_cmp_gt_i64_e64 s[24:25], 0, v[0:1]
	v_not_b32_e32 v1, v1
	v_ashrrev_i32_e32 v1, 31, v1
	v_and_b32_e32 v3, v3, v30
	v_xor_b32_e32 v30, s25, v1
	v_xor_b32_e32 v1, s24, v1
	v_and_b32_e32 v2, v2, v1
	v_lshlrev_b32_sdwa v1, v33, v19 dst_sel:DWORD dst_unused:UNUSED_PAD src0_sel:DWORD src1_sel:BYTE_1
	v_cmp_gt_i64_e64 s[24:25], 0, v[0:1]
	v_not_b32_e32 v1, v1
	v_ashrrev_i32_e32 v1, 31, v1
	v_and_b32_e32 v3, v3, v30
	v_xor_b32_e32 v30, s25, v1
	v_xor_b32_e32 v1, s24, v1
	v_and_b32_e32 v2, v2, v1
	v_lshlrev_b32_sdwa v1, v34, v19 dst_sel:DWORD dst_unused:UNUSED_PAD src0_sel:DWORD src1_sel:BYTE_1
	v_cmp_gt_i64_e64 s[24:25], 0, v[0:1]
	v_not_b32_e32 v1, v1
	v_ashrrev_i32_e32 v1, 31, v1
	v_and_b32_e32 v3, v3, v30
	v_xor_b32_e32 v30, s25, v1
	v_xor_b32_e32 v1, s24, v1
	v_and_b32_e32 v2, v2, v1
	v_lshlrev_b32_sdwa v1, v35, v19 dst_sel:DWORD dst_unused:UNUSED_PAD src0_sel:DWORD src1_sel:BYTE_1
	v_cmp_gt_i64_e64 s[24:25], 0, v[0:1]
	v_not_b32_e32 v1, v1
	v_ashrrev_i32_e32 v1, 31, v1
	v_and_b32_e32 v3, v3, v30
	v_xor_b32_e32 v30, s25, v1
	v_xor_b32_e32 v1, s24, v1
	v_and_b32_e32 v2, v2, v1
	v_lshlrev_b32_sdwa v1, v36, v19 dst_sel:DWORD dst_unused:UNUSED_PAD src0_sel:DWORD src1_sel:BYTE_1
	v_cmp_gt_i64_e64 s[24:25], 0, v[0:1]
	v_not_b32_e32 v1, v1
	v_ashrrev_i32_e32 v1, 31, v1
	v_and_b32_e32 v3, v3, v30
	v_xor_b32_e32 v30, s25, v1
	v_xor_b32_e32 v1, s24, v1
	; wave barrier
	ds_read_b32 v28, v29 offset:16
	v_and_b32_e32 v2, v2, v1
	v_and_b32_e32 v3, v3, v30
	v_mbcnt_lo_u32_b32 v1, v2, 0
	v_mbcnt_hi_u32_b32 v30, v3, v1
	v_cmp_eq_u32_e64 s[24:25], 0, v30
	v_cmp_ne_u64_e64 s[26:27], 0, v[2:3]
	s_and_b64 s[26:27], s[26:27], s[24:25]
	; wave barrier
	s_and_saveexec_b64 s[24:25], s[26:27]
	s_cbranch_execz .LBB12_55
; %bb.54:
	v_bcnt_u32_b32 v1, v2, 0
	v_bcnt_u32_b32 v1, v3, v1
	s_waitcnt lgkmcnt(0)
	v_add_u32_e32 v1, v28, v1
	ds_write_b32 v29, v1 offset:16
.LBB12_55:
	s_or_b64 exec, exec, s[24:25]
	v_mov_b32_e32 v2, 2
	v_lshlrev_b16_sdwa v1, v2, v18 dst_sel:DWORD dst_unused:UNUSED_PAD src0_sel:DWORD src1_sel:BYTE_1
	v_mov_b32_e32 v36, 1
	v_add_lshl_u32 v32, v10, v1, 2
	v_and_b32_sdwa v1, v18, v36 dst_sel:DWORD dst_unused:UNUSED_PAD src0_sel:BYTE_1 src1_sel:DWORD
	v_add_co_u32_e64 v3, s[24:25], -1, v1
	v_addc_co_u32_e64 v33, s[24:25], 0, -1, s[24:25]
	v_cmp_ne_u32_e64 s[24:25], 0, v1
	v_xor_b32_e32 v3, s24, v3
	v_xor_b32_e32 v1, s25, v33
	v_and_b32_e32 v34, exec_lo, v3
	v_mov_b32_e32 v3, 30
	v_and_b32_e32 v33, exec_hi, v1
	v_lshlrev_b32_sdwa v1, v3, v18 dst_sel:DWORD dst_unused:UNUSED_PAD src0_sel:DWORD src1_sel:BYTE_1
	v_cmp_gt_i64_e64 s[24:25], 0, v[0:1]
	v_not_b32_e32 v1, v1
	v_ashrrev_i32_e32 v1, 31, v1
	v_xor_b32_e32 v35, s25, v1
	v_xor_b32_e32 v1, s24, v1
	v_mov_b32_e32 v37, 29
	v_and_b32_e32 v34, v34, v1
	v_lshlrev_b32_sdwa v1, v37, v18 dst_sel:DWORD dst_unused:UNUSED_PAD src0_sel:DWORD src1_sel:BYTE_1
	v_cmp_gt_i64_e64 s[24:25], 0, v[0:1]
	v_not_b32_e32 v1, v1
	v_ashrrev_i32_e32 v1, 31, v1
	v_and_b32_e32 v33, v33, v35
	v_xor_b32_e32 v35, s25, v1
	v_xor_b32_e32 v1, s24, v1
	v_mov_b32_e32 v38, 28
	v_and_b32_e32 v34, v34, v1
	v_lshlrev_b32_sdwa v1, v38, v18 dst_sel:DWORD dst_unused:UNUSED_PAD src0_sel:DWORD src1_sel:BYTE_1
	v_cmp_gt_i64_e64 s[24:25], 0, v[0:1]
	v_not_b32_e32 v1, v1
	v_ashrrev_i32_e32 v1, 31, v1
	v_and_b32_e32 v33, v33, v35
	;; [unrolled: 9-line block ×5, first 2 shown]
	v_xor_b32_e32 v35, s25, v1
	v_xor_b32_e32 v1, s24, v1
	v_mov_b32_e32 v42, 24
	v_and_b32_e32 v34, v34, v1
	v_lshlrev_b32_sdwa v1, v42, v18 dst_sel:DWORD dst_unused:UNUSED_PAD src0_sel:DWORD src1_sel:BYTE_1
	v_cmp_gt_i64_e64 s[24:25], 0, v[0:1]
	v_not_b32_e32 v0, v1
	v_ashrrev_i32_e32 v0, 31, v0
	v_xor_b32_e32 v1, s25, v0
	v_xor_b32_e32 v0, s24, v0
	; wave barrier
	ds_read_b32 v31, v32 offset:16
	v_and_b32_e32 v33, v33, v35
	v_and_b32_e32 v0, v34, v0
	;; [unrolled: 1-line block ×3, first 2 shown]
	v_mbcnt_lo_u32_b32 v33, v0, 0
	v_mbcnt_hi_u32_b32 v33, v1, v33
	v_cmp_eq_u32_e64 s[24:25], 0, v33
	v_cmp_ne_u64_e64 s[26:27], 0, v[0:1]
	s_and_b64 s[26:27], s[26:27], s[24:25]
	; wave barrier
	s_and_saveexec_b64 s[24:25], s[26:27]
	s_cbranch_execz .LBB12_57
; %bb.56:
	v_bcnt_u32_b32 v0, v0, 0
	v_bcnt_u32_b32 v0, v1, v0
	s_waitcnt lgkmcnt(0)
	v_add_u32_e32 v0, v31, v0
	ds_write_b32 v32, v0 offset:16
.LBB12_57:
	s_or_b64 exec, exec, s[24:25]
	v_and_b32_sdwa v1, v17, v36 dst_sel:DWORD dst_unused:UNUSED_PAD src0_sel:BYTE_1 src1_sel:DWORD
	v_lshlrev_b16_sdwa v0, v2, v17 dst_sel:DWORD dst_unused:UNUSED_PAD src0_sel:DWORD src1_sel:BYTE_1
	v_add_co_u32_e64 v2, s[24:25], -1, v1
	v_addc_co_u32_e64 v36, s[24:25], 0, -1, s[24:25]
	v_cmp_ne_u32_e64 s[24:25], 0, v1
	v_xor_b32_e32 v1, s25, v36
	v_add_lshl_u32 v35, v10, v0, 2
	v_mov_b32_e32 v0, 0
	v_and_b32_e32 v36, exec_hi, v1
	v_lshlrev_b32_sdwa v1, v3, v17 dst_sel:DWORD dst_unused:UNUSED_PAD src0_sel:DWORD src1_sel:BYTE_1
	v_xor_b32_e32 v2, s24, v2
	v_cmp_gt_i64_e64 s[24:25], 0, v[0:1]
	v_not_b32_e32 v1, v1
	v_ashrrev_i32_e32 v1, 31, v1
	v_and_b32_e32 v2, exec_lo, v2
	v_xor_b32_e32 v3, s25, v1
	v_xor_b32_e32 v1, s24, v1
	v_and_b32_e32 v2, v2, v1
	v_lshlrev_b32_sdwa v1, v37, v17 dst_sel:DWORD dst_unused:UNUSED_PAD src0_sel:DWORD src1_sel:BYTE_1
	v_cmp_gt_i64_e64 s[24:25], 0, v[0:1]
	v_not_b32_e32 v1, v1
	v_ashrrev_i32_e32 v1, 31, v1
	v_and_b32_e32 v3, v36, v3
	v_xor_b32_e32 v36, s25, v1
	v_xor_b32_e32 v1, s24, v1
	v_and_b32_e32 v2, v2, v1
	v_lshlrev_b32_sdwa v1, v38, v17 dst_sel:DWORD dst_unused:UNUSED_PAD src0_sel:DWORD src1_sel:BYTE_1
	v_cmp_gt_i64_e64 s[24:25], 0, v[0:1]
	v_not_b32_e32 v1, v1
	v_ashrrev_i32_e32 v1, 31, v1
	v_and_b32_e32 v3, v3, v36
	;; [unrolled: 8-line block ×6, first 2 shown]
	v_xor_b32_e32 v36, s25, v1
	v_xor_b32_e32 v1, s24, v1
	; wave barrier
	ds_read_b32 v34, v35 offset:16
	v_and_b32_e32 v2, v2, v1
	v_and_b32_e32 v3, v3, v36
	v_mbcnt_lo_u32_b32 v1, v2, 0
	v_mbcnt_hi_u32_b32 v36, v3, v1
	v_cmp_eq_u32_e64 s[24:25], 0, v36
	v_cmp_ne_u64_e64 s[26:27], 0, v[2:3]
	s_and_b64 s[26:27], s[26:27], s[24:25]
	; wave barrier
	s_and_saveexec_b64 s[24:25], s[26:27]
	s_cbranch_execz .LBB12_59
; %bb.58:
	v_bcnt_u32_b32 v1, v2, 0
	v_bcnt_u32_b32 v1, v3, v1
	s_waitcnt lgkmcnt(0)
	v_add_u32_e32 v1, v34, v1
	ds_write_b32 v35, v1 offset:16
.LBB12_59:
	s_or_b64 exec, exec, s[24:25]
	v_mov_b32_e32 v1, 2
	v_lshlrev_b16_sdwa v1, v1, v6 dst_sel:DWORD dst_unused:UNUSED_PAD src0_sel:DWORD src1_sel:BYTE_1
	v_add_lshl_u32 v37, v10, v1, 2
	v_mov_b32_e32 v1, 1
	v_and_b32_sdwa v1, v6, v1 dst_sel:DWORD dst_unused:UNUSED_PAD src0_sel:BYTE_1 src1_sel:DWORD
	v_add_co_u32_e64 v2, s[24:25], -1, v1
	v_addc_co_u32_e64 v3, s[24:25], 0, -1, s[24:25]
	v_cmp_ne_u32_e64 s[24:25], 0, v1
	v_xor_b32_e32 v1, s25, v3
	v_and_b32_e32 v3, exec_hi, v1
	v_mov_b32_e32 v1, 30
	v_lshlrev_b32_sdwa v1, v1, v6 dst_sel:DWORD dst_unused:UNUSED_PAD src0_sel:DWORD src1_sel:BYTE_1
	v_xor_b32_e32 v2, s24, v2
	v_cmp_gt_i64_e64 s[24:25], 0, v[0:1]
	v_not_b32_e32 v1, v1
	v_ashrrev_i32_e32 v1, 31, v1
	v_and_b32_e32 v2, exec_lo, v2
	v_xor_b32_e32 v38, s25, v1
	v_xor_b32_e32 v1, s24, v1
	v_and_b32_e32 v2, v2, v1
	v_mov_b32_e32 v1, 29
	v_lshlrev_b32_sdwa v1, v1, v6 dst_sel:DWORD dst_unused:UNUSED_PAD src0_sel:DWORD src1_sel:BYTE_1
	v_cmp_gt_i64_e64 s[24:25], 0, v[0:1]
	v_not_b32_e32 v1, v1
	v_ashrrev_i32_e32 v1, 31, v1
	v_and_b32_e32 v3, v3, v38
	v_xor_b32_e32 v38, s25, v1
	v_xor_b32_e32 v1, s24, v1
	v_and_b32_e32 v2, v2, v1
	v_mov_b32_e32 v1, 28
	v_lshlrev_b32_sdwa v1, v1, v6 dst_sel:DWORD dst_unused:UNUSED_PAD src0_sel:DWORD src1_sel:BYTE_1
	v_cmp_gt_i64_e64 s[24:25], 0, v[0:1]
	v_not_b32_e32 v1, v1
	v_ashrrev_i32_e32 v1, 31, v1
	v_and_b32_e32 v3, v3, v38
	;; [unrolled: 9-line block ×5, first 2 shown]
	v_xor_b32_e32 v38, s25, v1
	v_xor_b32_e32 v1, s24, v1
	v_and_b32_e32 v2, v2, v1
	v_mov_b32_e32 v1, 24
	v_lshlrev_b32_sdwa v1, v1, v6 dst_sel:DWORD dst_unused:UNUSED_PAD src0_sel:DWORD src1_sel:BYTE_1
	v_cmp_gt_i64_e64 s[24:25], 0, v[0:1]
	v_not_b32_e32 v0, v1
	v_ashrrev_i32_e32 v0, 31, v0
	v_xor_b32_e32 v1, s25, v0
	v_xor_b32_e32 v0, s24, v0
	; wave barrier
	ds_read_b32 v10, v37 offset:16
	v_and_b32_e32 v3, v3, v38
	v_and_b32_e32 v0, v2, v0
	;; [unrolled: 1-line block ×3, first 2 shown]
	v_mbcnt_lo_u32_b32 v2, v0, 0
	v_mbcnt_hi_u32_b32 v38, v1, v2
	v_cmp_eq_u32_e64 s[24:25], 0, v38
	v_cmp_ne_u64_e64 s[26:27], 0, v[0:1]
	s_and_b64 s[26:27], s[26:27], s[24:25]
	; wave barrier
	s_and_saveexec_b64 s[24:25], s[26:27]
	s_cbranch_execz .LBB12_61
; %bb.60:
	v_bcnt_u32_b32 v0, v0, 0
	v_bcnt_u32_b32 v0, v1, v0
	s_waitcnt lgkmcnt(0)
	v_add_u32_e32 v0, v10, v0
	ds_write_b32 v37, v0 offset:16
.LBB12_61:
	s_or_b64 exec, exec, s[24:25]
	; wave barrier
	s_waitcnt lgkmcnt(0)
	s_barrier
	ds_read2_b64 v[0:3], v14 offset0:2 offset1:3
	s_waitcnt lgkmcnt(0)
	v_add_u32_e32 v39, v1, v0
	v_add3_u32 v3, v39, v2, v3
	s_nop 1
	v_mov_b32_dpp v39, v3 row_shr:1 row_mask:0xf bank_mask:0xf
	v_cndmask_b32_e64 v39, v39, 0, s[6:7]
	v_add_u32_e32 v3, v39, v3
	s_nop 1
	v_mov_b32_dpp v39, v3 row_shr:2 row_mask:0xf bank_mask:0xf
	v_cndmask_b32_e64 v39, 0, v39, s[8:9]
	v_add_u32_e32 v3, v3, v39
	;; [unrolled: 4-line block ×4, first 2 shown]
	s_nop 1
	v_mov_b32_dpp v39, v3 row_bcast:15 row_mask:0xf bank_mask:0xf
	v_cndmask_b32_e64 v39, v39, 0, s[0:1]
	v_add_u32_e32 v3, v3, v39
	s_nop 1
	v_mov_b32_dpp v39, v3 row_bcast:31 row_mask:0xf bank_mask:0xf
	v_cndmask_b32_e64 v39, 0, v39, s[18:19]
	v_add_u32_e32 v3, v3, v39
	s_and_saveexec_b64 s[0:1], vcc
	s_cbranch_execz .LBB12_63
; %bb.62:
	ds_write_b32 v15, v3
.LBB12_63:
	s_or_b64 exec, exec, s[0:1]
	s_waitcnt lgkmcnt(0)
	s_barrier
	s_and_saveexec_b64 s[0:1], s[10:11]
	s_cbranch_execz .LBB12_65
; %bb.64:
	ds_read_b32 v15, v11
	s_waitcnt lgkmcnt(0)
	s_nop 0
	v_mov_b32_dpp v39, v15 row_shr:1 row_mask:0xf bank_mask:0xf
	v_cndmask_b32_e64 v39, v39, 0, s[4:5]
	v_add_u32_e32 v15, v39, v15
	s_nop 1
	v_mov_b32_dpp v39, v15 row_shr:2 row_mask:0xf bank_mask:0xf
	v_cndmask_b32_e64 v39, 0, v39, s[2:3]
	v_add_u32_e32 v15, v15, v39
	ds_write_b32 v11, v15
.LBB12_65:
	s_or_b64 exec, exec, s[0:1]
	v_mov_b32_e32 v11, 0
	s_waitcnt lgkmcnt(0)
	s_barrier
	s_and_saveexec_b64 s[0:1], s[16:17]
	s_cbranch_execz .LBB12_67
; %bb.66:
	ds_read_b32 v11, v12
.LBB12_67:
	s_or_b64 exec, exec, s[0:1]
	s_waitcnt lgkmcnt(0)
	v_add_u32_e32 v3, v11, v3
	ds_bpermute_b32 v3, v13, v3
	v_lshlrev_b32_e32 v8, 1, v8
	v_lshlrev_b32_e32 v9, 1, v9
	s_waitcnt lgkmcnt(0)
	v_cndmask_b32_e64 v3, v3, v11, s[20:21]
	v_cndmask_b32_e64 v12, v3, 0, s[22:23]
	v_add_u32_e32 v13, v12, v0
	v_add_u32_e32 v0, v13, v1
	;; [unrolled: 1-line block ×3, first 2 shown]
	ds_write2_b64 v14, v[12:13], v[0:1] offset0:2 offset1:3
	s_waitcnt lgkmcnt(0)
	s_barrier
	ds_read_b32 v0, v37 offset:16
	ds_read_b32 v1, v35 offset:16
	;; [unrolled: 1-line block ×7, first 2 shown]
	s_waitcnt lgkmcnt(0)
	s_barrier
	v_lshlrev_b32_e32 v12, 1, v12
	v_lshl_add_u32 v8, v13, 1, v8
	ds_write_b16 v8, v22
	v_lshlrev_b32_e32 v8, 1, v24
	v_add3_u32 v8, v8, v9, v12
	ds_write_b16 v8, v21
	v_lshlrev_b32_e32 v8, 1, v27
	v_lshlrev_b32_e32 v9, 1, v25
	v_lshlrev_b32_e32 v11, 1, v11
	v_add3_u32 v8, v8, v9, v11
	ds_write_b16 v8, v20
	v_lshlrev_b32_e32 v8, 1, v30
	v_lshlrev_b32_e32 v9, 1, v28
	;; [unrolled: 5-line block ×5, first 2 shown]
	v_lshlrev_b32_e32 v0, 1, v0
	v_add3_u32 v0, v1, v2, v0
	ds_write_b16 v0, v6
	s_waitcnt lgkmcnt(0)
	s_barrier
.LBB12_68:
	s_waitcnt lgkmcnt(0)
	ds_read_u16 v3, v7 offset:12
	ds_read_b96 v[0:2], v7
	s_waitcnt lgkmcnt(1)
	global_store_short v[4:5], v3, off offset:12
	s_waitcnt lgkmcnt(0)
	global_store_dwordx3 v[4:5], v[0:2], off
	s_endpgm
	.section	.rodata,"a",@progbits
	.p2align	6, 0x0
	.amdhsa_kernel _Z15sort_key_kernelILj256ELj7ELb0ELb0EtEvPT3_jj
		.amdhsa_group_segment_fixed_size 4112
		.amdhsa_private_segment_fixed_size 0
		.amdhsa_kernarg_size 272
		.amdhsa_user_sgpr_count 6
		.amdhsa_user_sgpr_private_segment_buffer 1
		.amdhsa_user_sgpr_dispatch_ptr 0
		.amdhsa_user_sgpr_queue_ptr 0
		.amdhsa_user_sgpr_kernarg_segment_ptr 1
		.amdhsa_user_sgpr_dispatch_id 0
		.amdhsa_user_sgpr_flat_scratch_init 0
		.amdhsa_user_sgpr_kernarg_preload_length 0
		.amdhsa_user_sgpr_kernarg_preload_offset 0
		.amdhsa_user_sgpr_private_segment_size 0
		.amdhsa_uses_dynamic_stack 0
		.amdhsa_system_sgpr_private_segment_wavefront_offset 0
		.amdhsa_system_sgpr_workgroup_id_x 1
		.amdhsa_system_sgpr_workgroup_id_y 0
		.amdhsa_system_sgpr_workgroup_id_z 0
		.amdhsa_system_sgpr_workgroup_info 0
		.amdhsa_system_vgpr_workitem_id 2
		.amdhsa_next_free_vgpr 58
		.amdhsa_next_free_sgpr 40
		.amdhsa_accum_offset 60
		.amdhsa_reserve_vcc 1
		.amdhsa_reserve_flat_scratch 0
		.amdhsa_float_round_mode_32 0
		.amdhsa_float_round_mode_16_64 0
		.amdhsa_float_denorm_mode_32 3
		.amdhsa_float_denorm_mode_16_64 3
		.amdhsa_dx10_clamp 1
		.amdhsa_ieee_mode 1
		.amdhsa_fp16_overflow 0
		.amdhsa_tg_split 0
		.amdhsa_exception_fp_ieee_invalid_op 0
		.amdhsa_exception_fp_denorm_src 0
		.amdhsa_exception_fp_ieee_div_zero 0
		.amdhsa_exception_fp_ieee_overflow 0
		.amdhsa_exception_fp_ieee_underflow 0
		.amdhsa_exception_fp_ieee_inexact 0
		.amdhsa_exception_int_div_zero 0
	.end_amdhsa_kernel
	.section	.text._Z15sort_key_kernelILj256ELj7ELb0ELb0EtEvPT3_jj,"axG",@progbits,_Z15sort_key_kernelILj256ELj7ELb0ELb0EtEvPT3_jj,comdat
.Lfunc_end12:
	.size	_Z15sort_key_kernelILj256ELj7ELb0ELb0EtEvPT3_jj, .Lfunc_end12-_Z15sort_key_kernelILj256ELj7ELb0ELb0EtEvPT3_jj
                                        ; -- End function
	.section	.AMDGPU.csdata,"",@progbits
; Kernel info:
; codeLenInByte = 11528
; NumSgprs: 44
; NumVgprs: 58
; NumAgprs: 0
; TotalNumVgprs: 58
; ScratchSize: 0
; MemoryBound: 0
; FloatMode: 240
; IeeeMode: 1
; LDSByteSize: 4112 bytes/workgroup (compile time only)
; SGPRBlocks: 5
; VGPRBlocks: 7
; NumSGPRsForWavesPerEU: 44
; NumVGPRsForWavesPerEU: 58
; AccumOffset: 60
; Occupancy: 8
; WaveLimiterHint : 0
; COMPUTE_PGM_RSRC2:SCRATCH_EN: 0
; COMPUTE_PGM_RSRC2:USER_SGPR: 6
; COMPUTE_PGM_RSRC2:TRAP_HANDLER: 0
; COMPUTE_PGM_RSRC2:TGID_X_EN: 1
; COMPUTE_PGM_RSRC2:TGID_Y_EN: 0
; COMPUTE_PGM_RSRC2:TGID_Z_EN: 0
; COMPUTE_PGM_RSRC2:TIDIG_COMP_CNT: 2
; COMPUTE_PGM_RSRC3_GFX90A:ACCUM_OFFSET: 14
; COMPUTE_PGM_RSRC3_GFX90A:TG_SPLIT: 0
	.section	.text._Z15sort_key_kernelILj128ELj4ELb0ELb0EiEvPT3_jj,"axG",@progbits,_Z15sort_key_kernelILj128ELj4ELb0ELb0EiEvPT3_jj,comdat
	.protected	_Z15sort_key_kernelILj128ELj4ELb0ELb0EiEvPT3_jj ; -- Begin function _Z15sort_key_kernelILj128ELj4ELb0ELb0EiEvPT3_jj
	.globl	_Z15sort_key_kernelILj128ELj4ELb0ELb0EiEvPT3_jj
	.p2align	8
	.type	_Z15sort_key_kernelILj128ELj4ELb0ELb0EiEvPT3_jj,@function
_Z15sort_key_kernelILj128ELj4ELb0ELb0EiEvPT3_jj: ; @_Z15sort_key_kernelILj128ELj4ELb0ELb0EiEvPT3_jj
; %bb.0:
	s_load_dwordx4 s[36:39], s[4:5], 0x0
	s_lshl_b32 s34, s6, 9
	s_mov_b32 s35, 0
	s_lshl_b64 s[0:1], s[34:35], 2
	v_and_b32_e32 v4, 0x3ff, v0
	s_waitcnt lgkmcnt(0)
	s_add_u32 s36, s36, s0
	s_addc_u32 s37, s37, s1
	v_lshlrev_b32_e32 v23, 4, v4
	global_load_dwordx4 v[6:9], v23, s[36:37]
	v_mbcnt_lo_u32_b32 v1, -1, 0
	v_mbcnt_hi_u32_b32 v5, -1, v1
	s_cmp_lg_u32 s38, 0
	v_bfe_u32 v19, v0, 10, 10
	v_bfe_u32 v22, v0, 20, 10
	v_lshrrev_b32_e32 v0, 2, v5
	v_and_b32_e32 v15, 64, v5
	v_and_b32_e32 v1, 3, v5
	s_cselect_b64 s[18:19], -1, 0
	s_cmp_lg_u32 s39, 32
	v_cmp_eq_u32_e64 s[0:1], 3, v1
	v_cmp_eq_u32_e64 s[2:3], 2, v1
	;; [unrolled: 1-line block ×3, first 2 shown]
	v_or_b32_e32 v1, v0, v15
	s_cselect_b64 s[20:21], -1, 0
	v_lshlrev_b32_e32 v13, 2, v4
	v_lshlrev_b32_e32 v29, 2, v1
	s_or_b64 s[18:19], s[18:19], s[20:21]
	v_and_b32_e32 v20, 15, v5
	v_and_b32_e32 v21, 16, v5
	v_cmp_lt_u32_e64 s[8:9], 31, v5
	v_cmp_gt_u32_e64 s[10:11], 2, v4
	v_cmp_lt_u32_e64 s[12:13], 63, v4
	v_add_u32_e32 v17, -1, v5
	v_cmp_eq_u32_e64 s[14:15], 0, v5
	v_cmp_eq_u32_e64 s[16:17], 0, v4
	v_lshrrev_b32_e32 v16, 4, v4
	v_mul_i32_i24_e32 v14, -12, v4
	v_and_b32_e32 v18, 1, v5
	v_add_u32_e32 v24, 48, v0
	v_lshlrev_b32_e32 v12, 2, v13
	v_add_u32_e32 v30, 64, v29
	v_mov_b32_e32 v31, s37
	s_and_b64 vcc, exec, s[18:19]
	s_waitcnt vmcnt(0)
	v_xor_b32_e32 v27, 0x80000000, v6
	v_xor_b32_e32 v28, 0x80000000, v7
	;; [unrolled: 1-line block ×4, first 2 shown]
	s_cbranch_vccz .LBB13_20
; %bb.1:
	ds_bpermute_b32 v0, v29, v27
	ds_bpermute_b32 v1, v29, v28
	;; [unrolled: 1-line block ×5, first 2 shown]
	v_xor_b32_e32 v7, 0x80, v29
	s_waitcnt lgkmcnt(3)
	v_cndmask_b32_e64 v0, v0, v1, s[6:7]
	ds_bpermute_b32 v1, v30, v28
	s_waitcnt lgkmcnt(3)
	v_cndmask_b32_e64 v0, v0, v2, s[2:3]
	ds_bpermute_b32 v2, v30, v26
	s_waitcnt lgkmcnt(3)
	v_cndmask_b32_e64 v0, v0, v3, s[0:1]
	ds_bpermute_b32 v3, v30, v25
	ds_bpermute_b32 v8, v7, v27
	ds_bpermute_b32 v9, v7, v28
	s_waitcnt lgkmcnt(4)
	v_cndmask_b32_e64 v1, v6, v1, s[6:7]
	v_and_or_b32 v6, v24, 63, v15
	ds_bpermute_b32 v10, v7, v26
	s_waitcnt lgkmcnt(4)
	v_cndmask_b32_e64 v1, v1, v2, s[2:3]
	v_lshlrev_b32_e32 v6, 2, v6
	s_waitcnt lgkmcnt(3)
	v_cndmask_b32_e64 v1, v1, v3, s[0:1]
	s_waitcnt lgkmcnt(1)
	v_cndmask_b32_e64 v2, v8, v9, s[6:7]
	ds_bpermute_b32 v3, v7, v25
	ds_bpermute_b32 v7, v6, v27
	;; [unrolled: 1-line block ×4, first 2 shown]
	s_waitcnt lgkmcnt(0)
	s_barrier
	s_load_dword s18, s[4:5], 0x1c
	ds_bpermute_b32 v6, v6, v25
	v_cndmask_b32_e64 v2, v2, v10, s[2:3]
	v_cndmask_b32_e64 v2, v2, v3, s[0:1]
	;; [unrolled: 1-line block ×4, first 2 shown]
	s_waitcnt lgkmcnt(0)
	s_lshr_b32 s19, s18, 16
	v_cndmask_b32_e64 v3, v3, v6, s[0:1]
	s_and_b32 s18, s18, 0xffff
	v_mad_u32_u24 v6, v22, s19, v19
	v_mad_u64_u32 v[6:7], s[18:19], v6, s18, v[4:5]
	v_lshrrev_b32_e32 v32, 6, v6
	v_and_b32_e32 v6, 0x3c0, v4
	v_min_u32_e32 v6, 64, v6
	v_or_b32_e32 v6, 63, v6
	v_cmp_lt_i32_e32 vcc, v17, v15
	v_cmp_eq_u32_e64 s[28:29], v6, v4
	v_cndmask_b32_e32 v6, v17, v5, vcc
	s_movk_i32 s33, 0xf00
	v_lshlrev_b32_e32 v33, 2, v6
	v_and_b32_e32 v34, 60, v16
	v_and_or_b32 v6, v13, s33, v5
	s_mov_b32 s34, s35
	s_mov_b32 s40, s35
	;; [unrolled: 1-line block ×3, first 2 shown]
	v_cmp_eq_u32_e64 s[18:19], 0, v20
	v_cmp_lt_u32_e64 s[20:21], 1, v20
	v_cmp_lt_u32_e64 s[22:23], 3, v20
	;; [unrolled: 1-line block ×3, first 2 shown]
	v_cmp_eq_u32_e64 s[26:27], 0, v21
	v_cmp_eq_u32_e64 s[30:31], 0, v18
	v_add_u32_e32 v35, -4, v34
	v_lshlrev_b32_e32 v36, 2, v6
	s_sub_i32 s33, s39, s38
	v_pk_mov_b32 v[6:7], s[34:35], s[34:35] op_sel:[0,1]
	v_pk_mov_b32 v[8:9], s[40:41], s[40:41] op_sel:[0,1]
	v_add_u32_e32 v37, v12, v14
	v_mov_b32_e32 v10, 0
	s_branch .LBB13_3
.LBB13_2:                               ;   in Loop: Header=BB13_3 Depth=1
	s_barrier
	ds_write_b32 v42, v41
	ds_write_b32 v43, v40
	;; [unrolled: 1-line block ×4, first 2 shown]
	s_waitcnt lgkmcnt(0)
	s_barrier
	ds_read2st64_b32 v[0:1], v36 offset1:1
	ds_read2st64_b32 v[2:3], v36 offset0:2 offset1:3
	s_add_i32 s33, s33, -8
	s_waitcnt lgkmcnt(0)
	s_barrier
	s_cbranch_execz .LBB13_19
.LBB13_3:                               ; =>This Inner Loop Header: Depth=1
	s_min_u32 s34, s33, 8
	v_mov_b32_e32 v41, v0
	s_lshl_b32 s34, -1, s34
	s_not_b32 s37, s34
	v_lshrrev_b32_e32 v0, s38, v41
	v_and_b32_e32 v0, s37, v0
	v_mov_b32_e32 v40, v1
	v_lshl_add_u32 v1, v0, 1, v32
	v_lshl_add_u32 v42, v1, 2, 8
	v_and_b32_e32 v1, 1, v0
	v_mov_b32_e32 v39, v2
	v_add_co_u32_e32 v2, vcc, -1, v1
	v_mov_b32_e32 v38, v3
	v_addc_co_u32_e64 v3, s[34:35], 0, -1, vcc
	v_cmp_ne_u32_e32 vcc, 0, v1
	v_lshlrev_b32_e32 v11, 30, v0
	v_xor_b32_e32 v1, vcc_hi, v3
	v_not_b32_e32 v3, v11
	v_xor_b32_e32 v2, vcc_lo, v2
	v_cmp_gt_i64_e32 vcc, 0, v[10:11]
	v_ashrrev_i32_e32 v3, 31, v3
	v_and_b32_e32 v1, exec_hi, v1
	v_xor_b32_e32 v11, vcc_hi, v3
	v_and_b32_e32 v2, exec_lo, v2
	v_xor_b32_e32 v3, vcc_lo, v3
	v_and_b32_e32 v1, v1, v11
	v_lshlrev_b32_e32 v11, 29, v0
	v_and_b32_e32 v2, v2, v3
	v_not_b32_e32 v3, v11
	v_cmp_gt_i64_e32 vcc, 0, v[10:11]
	v_ashrrev_i32_e32 v3, 31, v3
	v_xor_b32_e32 v11, vcc_hi, v3
	v_xor_b32_e32 v3, vcc_lo, v3
	v_and_b32_e32 v1, v1, v11
	v_lshlrev_b32_e32 v11, 28, v0
	v_and_b32_e32 v2, v2, v3
	v_not_b32_e32 v3, v11
	v_cmp_gt_i64_e32 vcc, 0, v[10:11]
	v_ashrrev_i32_e32 v3, 31, v3
	v_xor_b32_e32 v11, vcc_hi, v3
	;; [unrolled: 8-line block ×5, first 2 shown]
	v_and_b32_e32 v1, v1, v11
	v_lshlrev_b32_e32 v11, 24, v0
	v_not_b32_e32 v0, v11
	v_xor_b32_e32 v3, vcc_lo, v3
	v_cmp_gt_i64_e32 vcc, 0, v[10:11]
	v_ashrrev_i32_e32 v0, 31, v0
	v_and_b32_e32 v2, v2, v3
	v_xor_b32_e32 v3, vcc_hi, v0
	v_xor_b32_e32 v0, vcc_lo, v0
	v_and_b32_e32 v0, v2, v0
	v_and_b32_e32 v1, v1, v3
	v_mbcnt_lo_u32_b32 v2, v0, 0
	v_mbcnt_hi_u32_b32 v43, v1, v2
	v_cmp_eq_u32_e32 vcc, 0, v43
	v_cmp_ne_u64_e64 s[34:35], 0, v[0:1]
	s_and_b64 s[40:41], s[34:35], vcc
	ds_write2_b64 v12, v[6:7], v[8:9] offset0:1 offset1:2
	s_waitcnt lgkmcnt(0)
	s_barrier
	s_waitcnt lgkmcnt(0)
	; wave barrier
	s_and_saveexec_b64 s[34:35], s[40:41]
	s_cbranch_execz .LBB13_5
; %bb.4:                                ;   in Loop: Header=BB13_3 Depth=1
	v_bcnt_u32_b32 v0, v0, 0
	v_bcnt_u32_b32 v0, v1, v0
	ds_write_b32 v42, v0
.LBB13_5:                               ;   in Loop: Header=BB13_3 Depth=1
	s_or_b64 exec, exec, s[34:35]
	v_lshrrev_b32_e32 v0, s38, v40
	v_and_b32_e32 v0, s37, v0
	v_lshlrev_b32_e32 v1, 1, v0
	v_add_lshl_u32 v1, v1, v32, 2
	; wave barrier
	v_add_u32_e32 v45, 8, v1
	ds_read_b32 v44, v1 offset:8
	v_and_b32_e32 v1, 1, v0
	v_add_co_u32_e32 v2, vcc, -1, v1
	v_addc_co_u32_e64 v3, s[34:35], 0, -1, vcc
	v_cmp_ne_u32_e32 vcc, 0, v1
	v_lshlrev_b32_e32 v11, 30, v0
	v_xor_b32_e32 v1, vcc_hi, v3
	v_not_b32_e32 v3, v11
	v_xor_b32_e32 v2, vcc_lo, v2
	v_cmp_gt_i64_e32 vcc, 0, v[10:11]
	v_ashrrev_i32_e32 v3, 31, v3
	v_and_b32_e32 v1, exec_hi, v1
	v_xor_b32_e32 v11, vcc_hi, v3
	v_and_b32_e32 v2, exec_lo, v2
	v_xor_b32_e32 v3, vcc_lo, v3
	v_and_b32_e32 v1, v1, v11
	v_lshlrev_b32_e32 v11, 29, v0
	v_and_b32_e32 v2, v2, v3
	v_not_b32_e32 v3, v11
	v_cmp_gt_i64_e32 vcc, 0, v[10:11]
	v_ashrrev_i32_e32 v3, 31, v3
	v_xor_b32_e32 v11, vcc_hi, v3
	v_xor_b32_e32 v3, vcc_lo, v3
	v_and_b32_e32 v1, v1, v11
	v_lshlrev_b32_e32 v11, 28, v0
	v_and_b32_e32 v2, v2, v3
	v_not_b32_e32 v3, v11
	v_cmp_gt_i64_e32 vcc, 0, v[10:11]
	v_ashrrev_i32_e32 v3, 31, v3
	v_xor_b32_e32 v11, vcc_hi, v3
	;; [unrolled: 8-line block ×5, first 2 shown]
	v_and_b32_e32 v1, v1, v11
	v_lshlrev_b32_e32 v11, 24, v0
	v_not_b32_e32 v0, v11
	v_xor_b32_e32 v3, vcc_lo, v3
	v_cmp_gt_i64_e32 vcc, 0, v[10:11]
	v_ashrrev_i32_e32 v0, 31, v0
	v_and_b32_e32 v2, v2, v3
	v_xor_b32_e32 v3, vcc_hi, v0
	v_xor_b32_e32 v0, vcc_lo, v0
	v_and_b32_e32 v0, v2, v0
	v_and_b32_e32 v1, v1, v3
	v_mbcnt_lo_u32_b32 v2, v0, 0
	v_mbcnt_hi_u32_b32 v46, v1, v2
	v_cmp_eq_u32_e32 vcc, 0, v46
	v_cmp_ne_u64_e64 s[34:35], 0, v[0:1]
	s_and_b64 s[40:41], s[34:35], vcc
	; wave barrier
	s_and_saveexec_b64 s[34:35], s[40:41]
	s_cbranch_execz .LBB13_7
; %bb.6:                                ;   in Loop: Header=BB13_3 Depth=1
	v_bcnt_u32_b32 v0, v0, 0
	v_bcnt_u32_b32 v0, v1, v0
	s_waitcnt lgkmcnt(0)
	v_add_u32_e32 v0, v44, v0
	ds_write_b32 v45, v0
.LBB13_7:                               ;   in Loop: Header=BB13_3 Depth=1
	s_or_b64 exec, exec, s[34:35]
	v_lshrrev_b32_e32 v0, s38, v39
	v_and_b32_e32 v0, s37, v0
	v_lshlrev_b32_e32 v1, 1, v0
	v_add_lshl_u32 v1, v1, v32, 2
	; wave barrier
	v_add_u32_e32 v48, 8, v1
	ds_read_b32 v47, v1 offset:8
	v_and_b32_e32 v1, 1, v0
	v_add_co_u32_e32 v2, vcc, -1, v1
	v_addc_co_u32_e64 v3, s[34:35], 0, -1, vcc
	v_cmp_ne_u32_e32 vcc, 0, v1
	v_lshlrev_b32_e32 v11, 30, v0
	v_xor_b32_e32 v1, vcc_hi, v3
	v_not_b32_e32 v3, v11
	v_xor_b32_e32 v2, vcc_lo, v2
	v_cmp_gt_i64_e32 vcc, 0, v[10:11]
	v_ashrrev_i32_e32 v3, 31, v3
	v_and_b32_e32 v1, exec_hi, v1
	v_xor_b32_e32 v11, vcc_hi, v3
	v_and_b32_e32 v2, exec_lo, v2
	v_xor_b32_e32 v3, vcc_lo, v3
	v_and_b32_e32 v1, v1, v11
	v_lshlrev_b32_e32 v11, 29, v0
	v_and_b32_e32 v2, v2, v3
	v_not_b32_e32 v3, v11
	v_cmp_gt_i64_e32 vcc, 0, v[10:11]
	v_ashrrev_i32_e32 v3, 31, v3
	v_xor_b32_e32 v11, vcc_hi, v3
	v_xor_b32_e32 v3, vcc_lo, v3
	v_and_b32_e32 v1, v1, v11
	v_lshlrev_b32_e32 v11, 28, v0
	v_and_b32_e32 v2, v2, v3
	v_not_b32_e32 v3, v11
	v_cmp_gt_i64_e32 vcc, 0, v[10:11]
	v_ashrrev_i32_e32 v3, 31, v3
	v_xor_b32_e32 v11, vcc_hi, v3
	;; [unrolled: 8-line block ×5, first 2 shown]
	v_and_b32_e32 v1, v1, v11
	v_lshlrev_b32_e32 v11, 24, v0
	v_not_b32_e32 v0, v11
	v_xor_b32_e32 v3, vcc_lo, v3
	v_cmp_gt_i64_e32 vcc, 0, v[10:11]
	v_ashrrev_i32_e32 v0, 31, v0
	v_and_b32_e32 v2, v2, v3
	v_xor_b32_e32 v3, vcc_hi, v0
	v_xor_b32_e32 v0, vcc_lo, v0
	v_and_b32_e32 v0, v2, v0
	v_and_b32_e32 v1, v1, v3
	v_mbcnt_lo_u32_b32 v2, v0, 0
	v_mbcnt_hi_u32_b32 v49, v1, v2
	v_cmp_eq_u32_e32 vcc, 0, v49
	v_cmp_ne_u64_e64 s[34:35], 0, v[0:1]
	s_and_b64 s[40:41], s[34:35], vcc
	; wave barrier
	s_and_saveexec_b64 s[34:35], s[40:41]
	s_cbranch_execz .LBB13_9
; %bb.8:                                ;   in Loop: Header=BB13_3 Depth=1
	v_bcnt_u32_b32 v0, v0, 0
	v_bcnt_u32_b32 v0, v1, v0
	s_waitcnt lgkmcnt(0)
	v_add_u32_e32 v0, v47, v0
	ds_write_b32 v48, v0
.LBB13_9:                               ;   in Loop: Header=BB13_3 Depth=1
	s_or_b64 exec, exec, s[34:35]
	v_lshrrev_b32_e32 v0, s38, v38
	v_and_b32_e32 v0, s37, v0
	v_lshlrev_b32_e32 v1, 1, v0
	v_add_lshl_u32 v1, v1, v32, 2
	; wave barrier
	v_add_u32_e32 v51, 8, v1
	ds_read_b32 v50, v1 offset:8
	v_and_b32_e32 v1, 1, v0
	v_add_co_u32_e32 v2, vcc, -1, v1
	v_addc_co_u32_e64 v3, s[34:35], 0, -1, vcc
	v_cmp_ne_u32_e32 vcc, 0, v1
	v_lshlrev_b32_e32 v11, 30, v0
	v_xor_b32_e32 v1, vcc_hi, v3
	v_not_b32_e32 v3, v11
	v_xor_b32_e32 v2, vcc_lo, v2
	v_cmp_gt_i64_e32 vcc, 0, v[10:11]
	v_ashrrev_i32_e32 v3, 31, v3
	v_and_b32_e32 v1, exec_hi, v1
	v_xor_b32_e32 v11, vcc_hi, v3
	v_and_b32_e32 v2, exec_lo, v2
	v_xor_b32_e32 v3, vcc_lo, v3
	v_and_b32_e32 v1, v1, v11
	v_lshlrev_b32_e32 v11, 29, v0
	v_and_b32_e32 v2, v2, v3
	v_not_b32_e32 v3, v11
	v_cmp_gt_i64_e32 vcc, 0, v[10:11]
	v_ashrrev_i32_e32 v3, 31, v3
	v_xor_b32_e32 v11, vcc_hi, v3
	v_xor_b32_e32 v3, vcc_lo, v3
	v_and_b32_e32 v1, v1, v11
	v_lshlrev_b32_e32 v11, 28, v0
	v_and_b32_e32 v2, v2, v3
	v_not_b32_e32 v3, v11
	v_cmp_gt_i64_e32 vcc, 0, v[10:11]
	v_ashrrev_i32_e32 v3, 31, v3
	v_xor_b32_e32 v11, vcc_hi, v3
	;; [unrolled: 8-line block ×5, first 2 shown]
	v_and_b32_e32 v1, v1, v11
	v_lshlrev_b32_e32 v11, 24, v0
	v_not_b32_e32 v0, v11
	v_xor_b32_e32 v3, vcc_lo, v3
	v_cmp_gt_i64_e32 vcc, 0, v[10:11]
	v_ashrrev_i32_e32 v0, 31, v0
	v_and_b32_e32 v2, v2, v3
	v_xor_b32_e32 v3, vcc_hi, v0
	v_xor_b32_e32 v0, vcc_lo, v0
	v_and_b32_e32 v0, v2, v0
	v_and_b32_e32 v1, v1, v3
	v_mbcnt_lo_u32_b32 v2, v0, 0
	v_mbcnt_hi_u32_b32 v11, v1, v2
	v_cmp_eq_u32_e32 vcc, 0, v11
	v_cmp_ne_u64_e64 s[34:35], 0, v[0:1]
	s_and_b64 s[40:41], s[34:35], vcc
	; wave barrier
	s_and_saveexec_b64 s[34:35], s[40:41]
	s_cbranch_execz .LBB13_11
; %bb.10:                               ;   in Loop: Header=BB13_3 Depth=1
	v_bcnt_u32_b32 v0, v0, 0
	v_bcnt_u32_b32 v0, v1, v0
	s_waitcnt lgkmcnt(0)
	v_add_u32_e32 v0, v50, v0
	ds_write_b32 v51, v0
.LBB13_11:                              ;   in Loop: Header=BB13_3 Depth=1
	s_or_b64 exec, exec, s[34:35]
	; wave barrier
	s_waitcnt lgkmcnt(0)
	s_barrier
	ds_read2_b64 v[0:3], v12 offset0:1 offset1:2
	s_waitcnt lgkmcnt(0)
	v_add_u32_e32 v52, v1, v0
	v_add3_u32 v3, v52, v2, v3
	s_nop 1
	v_mov_b32_dpp v52, v3 row_shr:1 row_mask:0xf bank_mask:0xf
	v_cndmask_b32_e64 v52, v52, 0, s[18:19]
	v_add_u32_e32 v3, v52, v3
	s_nop 1
	v_mov_b32_dpp v52, v3 row_shr:2 row_mask:0xf bank_mask:0xf
	v_cndmask_b32_e64 v52, 0, v52, s[20:21]
	v_add_u32_e32 v3, v3, v52
	;; [unrolled: 4-line block ×4, first 2 shown]
	s_nop 1
	v_mov_b32_dpp v52, v3 row_bcast:15 row_mask:0xf bank_mask:0xf
	v_cndmask_b32_e64 v52, v52, 0, s[26:27]
	v_add_u32_e32 v3, v3, v52
	s_nop 1
	v_mov_b32_dpp v52, v3 row_bcast:31 row_mask:0xf bank_mask:0xf
	v_cndmask_b32_e64 v52, 0, v52, s[8:9]
	v_add_u32_e32 v3, v3, v52
	s_and_saveexec_b64 s[34:35], s[28:29]
	s_cbranch_execz .LBB13_13
; %bb.12:                               ;   in Loop: Header=BB13_3 Depth=1
	ds_write_b32 v34, v3
.LBB13_13:                              ;   in Loop: Header=BB13_3 Depth=1
	s_or_b64 exec, exec, s[34:35]
	s_waitcnt lgkmcnt(0)
	s_barrier
	s_and_saveexec_b64 s[34:35], s[10:11]
	s_cbranch_execz .LBB13_15
; %bb.14:                               ;   in Loop: Header=BB13_3 Depth=1
	ds_read_b32 v52, v37
	s_waitcnt lgkmcnt(0)
	s_nop 0
	v_mov_b32_dpp v53, v52 row_shr:1 row_mask:0xf bank_mask:0xf
	v_cndmask_b32_e64 v53, v53, 0, s[30:31]
	v_add_u32_e32 v52, v53, v52
	ds_write_b32 v37, v52
.LBB13_15:                              ;   in Loop: Header=BB13_3 Depth=1
	s_or_b64 exec, exec, s[34:35]
	v_mov_b32_e32 v52, 0
	s_waitcnt lgkmcnt(0)
	s_barrier
	s_and_saveexec_b64 s[34:35], s[12:13]
	s_cbranch_execz .LBB13_17
; %bb.16:                               ;   in Loop: Header=BB13_3 Depth=1
	ds_read_b32 v52, v35
.LBB13_17:                              ;   in Loop: Header=BB13_3 Depth=1
	s_or_b64 exec, exec, s[34:35]
	s_waitcnt lgkmcnt(0)
	v_add_u32_e32 v3, v52, v3
	ds_bpermute_b32 v3, v33, v3
	s_add_i32 s38, s38, 8
	s_cmp_ge_u32 s38, s39
	s_waitcnt lgkmcnt(0)
	v_cndmask_b32_e64 v3, v3, v52, s[14:15]
	v_cndmask_b32_e64 v52, v3, 0, s[16:17]
	v_add_u32_e32 v53, v52, v0
	v_add_u32_e32 v0, v53, v1
	;; [unrolled: 1-line block ×3, first 2 shown]
	ds_write2_b64 v12, v[52:53], v[0:1] offset0:1 offset1:2
	s_waitcnt lgkmcnt(0)
	s_barrier
	ds_read_b32 v0, v42
	ds_read_b32 v1, v45
	;; [unrolled: 1-line block ×4, first 2 shown]
	v_lshlrev_b32_e32 v42, 2, v43
	s_waitcnt lgkmcnt(3)
	v_lshl_add_u32 v42, v0, 2, v42
	v_lshlrev_b32_e32 v0, 2, v46
	v_lshlrev_b32_e32 v43, 2, v44
	s_waitcnt lgkmcnt(2)
	v_lshlrev_b32_e32 v1, 2, v1
	v_add3_u32 v43, v0, v43, v1
	v_lshlrev_b32_e32 v0, 2, v49
	v_lshlrev_b32_e32 v1, 2, v47
	s_waitcnt lgkmcnt(1)
	v_lshlrev_b32_e32 v2, 2, v2
	v_add3_u32 v44, v0, v1, v2
	;; [unrolled: 5-line block ×3, first 2 shown]
	s_cbranch_scc0 .LBB13_2
; %bb.18:
                                        ; implicit-def: $vgpr3
                                        ; implicit-def: $vgpr1
                                        ; implicit-def: $sgpr33
.LBB13_19:
	v_or_b32_e32 v2, 1, v13
	v_or_b32_e32 v1, 2, v13
	;; [unrolled: 1-line block ×3, first 2 shown]
	s_barrier
	ds_write_b32 v42, v41
	ds_write_b32 v43, v40
	;; [unrolled: 1-line block ×4, first 2 shown]
	s_waitcnt lgkmcnt(0)
	s_barrier
	v_add_co_u32_e32 v6, vcc, s36, v23
	v_addc_co_u32_e32 v7, vcc, 0, v31, vcc
	s_branch .LBB13_40
.LBB13_20:
                                        ; implicit-def: $vgpr0
                                        ; implicit-def: $vgpr1
                                        ; implicit-def: $vgpr2
	v_add_co_u32_e32 v6, vcc, s36, v23
	v_addc_co_u32_e32 v7, vcc, 0, v31, vcc
	s_cbranch_execz .LBB13_40
; %bb.21:
	ds_bpermute_b32 v0, v29, v27
	ds_bpermute_b32 v1, v29, v28
	;; [unrolled: 1-line block ×5, first 2 shown]
	v_xor_b32_e32 v9, 0x80, v29
	s_waitcnt lgkmcnt(3)
	v_cndmask_b32_e64 v0, v0, v1, s[6:7]
	ds_bpermute_b32 v1, v30, v28
	s_waitcnt lgkmcnt(3)
	v_cndmask_b32_e64 v0, v0, v2, s[2:3]
	ds_bpermute_b32 v2, v30, v26
	;; [unrolled: 3-line block ×3, first 2 shown]
	ds_bpermute_b32 v10, v9, v27
	ds_bpermute_b32 v11, v9, v28
	s_waitcnt lgkmcnt(4)
	v_cndmask_b32_e64 v1, v8, v1, s[6:7]
	v_and_or_b32 v8, v24, 63, v15
	ds_bpermute_b32 v23, v9, v26
	s_waitcnt lgkmcnt(4)
	v_cndmask_b32_e64 v1, v1, v2, s[2:3]
	v_lshlrev_b32_e32 v8, 2, v8
	s_waitcnt lgkmcnt(3)
	v_cndmask_b32_e64 v1, v1, v3, s[0:1]
	s_waitcnt lgkmcnt(1)
	v_cndmask_b32_e64 v2, v10, v11, s[6:7]
	ds_bpermute_b32 v3, v9, v25
	ds_bpermute_b32 v9, v8, v27
	;; [unrolled: 1-line block ×5, first 2 shown]
	s_waitcnt lgkmcnt(0)
	s_barrier
	s_load_dword s4, s[4:5], 0x1c
	v_cndmask_b32_e64 v2, v2, v23, s[2:3]
	v_cndmask_b32_e64 v2, v2, v3, s[0:1]
	;; [unrolled: 1-line block ×5, first 2 shown]
	s_waitcnt lgkmcnt(0)
	s_lshr_b32 s0, s4, 16
	s_and_b32 s1, s4, 0xffff
	v_mad_u32_u24 v8, v22, s0, v19
	v_mad_u64_u32 v[8:9], s[0:1], v8, s1, v[4:5]
	v_lshrrev_b32_e32 v19, 6, v8
	v_and_b32_e32 v8, 0x3c0, v4
	v_min_u32_e32 v8, 64, v8
	s_mov_b32 s26, 0
	v_or_b32_e32 v8, 63, v8
	v_cmp_lt_i32_e32 vcc, v17, v15
	s_movk_i32 s24, 0xf00
	v_cmp_eq_u32_e64 s[12:13], v8, v4
	v_cmp_gt_u32_e64 s[14:15], 2, v4
	v_cmp_lt_u32_e64 s[16:17], 63, v4
	v_cndmask_b32_e32 v8, v17, v5, vcc
	v_cmp_eq_u32_e64 s[20:21], 0, v4
	v_and_b32_e32 v16, 60, v16
	v_and_or_b32 v4, v13, s24, v5
	s_mov_b32 s27, s26
	s_mov_b32 s24, s26
	;; [unrolled: 1-line block ×3, first 2 shown]
	v_cmp_eq_u32_e64 s[0:1], 0, v20
	v_cmp_lt_u32_e64 s[2:3], 1, v20
	v_cmp_lt_u32_e64 s[4:5], 3, v20
	;; [unrolled: 1-line block ×3, first 2 shown]
	v_cmp_eq_u32_e64 s[8:9], 0, v21
	v_cmp_lt_u32_e64 s[10:11], 31, v5
	v_lshlrev_b32_e32 v15, 2, v8
	v_cmp_eq_u32_e64 s[18:19], 0, v5
	v_cmp_eq_u32_e64 s[22:23], 0, v18
	v_add_u32_e32 v17, -4, v16
	v_lshlrev_b32_e32 v18, 2, v4
	v_pk_mov_b32 v[4:5], s[26:27], s[26:27] op_sel:[0,1]
	v_pk_mov_b32 v[8:9], s[24:25], s[24:25] op_sel:[0,1]
	v_add_u32_e32 v21, v12, v14
	v_mov_b32_e32 v10, 0
	s_branch .LBB13_23
.LBB13_22:                              ;   in Loop: Header=BB13_23 Depth=1
	v_lshlrev_b32_e32 v0, 2, v27
	s_barrier
	ds_write_b32 v0, v23
	v_lshlrev_b32_e32 v0, 2, v25
	ds_write_b32 v0, v22
	v_lshlrev_b32_e32 v0, 2, v24
	;; [unrolled: 2-line block ×3, first 2 shown]
	ds_write_b32 v0, v14
	s_waitcnt lgkmcnt(0)
	s_barrier
	ds_read2st64_b32 v[0:1], v18 offset1:1
	ds_read2st64_b32 v[2:3], v18 offset0:2 offset1:3
	s_add_i32 s26, s26, 8
	s_waitcnt lgkmcnt(0)
	s_barrier
	s_cbranch_execz .LBB13_39
.LBB13_23:                              ; =>This Inner Loop Header: Depth=1
	v_mov_b32_e32 v23, v0
	v_mov_b32_e32 v22, v1
	v_bfe_u32 v1, v23, s26, 8
	v_lshl_add_u32 v1, v1, 1, v19
	v_lshl_add_u32 v24, v1, 2, 8
	v_bfe_u32 v1, v23, s26, 1
	v_mov_b32_e32 v20, v2
	v_lshrrev_b32_e32 v0, s26, v23
	v_add_co_u32_e32 v2, vcc, -1, v1
	v_mov_b32_e32 v14, v3
	v_addc_co_u32_e64 v3, s[24:25], 0, -1, vcc
	v_cmp_ne_u32_e32 vcc, 0, v1
	v_lshlrev_b32_e32 v11, 30, v0
	v_xor_b32_e32 v1, vcc_hi, v3
	v_not_b32_e32 v3, v11
	v_xor_b32_e32 v2, vcc_lo, v2
	v_cmp_gt_i64_e32 vcc, 0, v[10:11]
	v_ashrrev_i32_e32 v3, 31, v3
	v_and_b32_e32 v1, exec_hi, v1
	v_xor_b32_e32 v11, vcc_hi, v3
	v_and_b32_e32 v2, exec_lo, v2
	v_xor_b32_e32 v3, vcc_lo, v3
	v_and_b32_e32 v1, v1, v11
	v_lshlrev_b32_e32 v11, 29, v0
	v_and_b32_e32 v2, v2, v3
	v_not_b32_e32 v3, v11
	v_cmp_gt_i64_e32 vcc, 0, v[10:11]
	v_ashrrev_i32_e32 v3, 31, v3
	v_xor_b32_e32 v11, vcc_hi, v3
	v_xor_b32_e32 v3, vcc_lo, v3
	v_and_b32_e32 v1, v1, v11
	v_lshlrev_b32_e32 v11, 28, v0
	v_and_b32_e32 v2, v2, v3
	v_not_b32_e32 v3, v11
	v_cmp_gt_i64_e32 vcc, 0, v[10:11]
	v_ashrrev_i32_e32 v3, 31, v3
	v_xor_b32_e32 v11, vcc_hi, v3
	;; [unrolled: 8-line block ×5, first 2 shown]
	v_and_b32_e32 v1, v1, v11
	v_lshlrev_b32_e32 v11, 24, v0
	v_not_b32_e32 v0, v11
	v_xor_b32_e32 v3, vcc_lo, v3
	v_cmp_gt_i64_e32 vcc, 0, v[10:11]
	v_ashrrev_i32_e32 v0, 31, v0
	v_and_b32_e32 v2, v2, v3
	v_xor_b32_e32 v3, vcc_hi, v0
	v_xor_b32_e32 v0, vcc_lo, v0
	v_and_b32_e32 v0, v2, v0
	v_and_b32_e32 v1, v1, v3
	v_mbcnt_lo_u32_b32 v2, v0, 0
	v_mbcnt_hi_u32_b32 v25, v1, v2
	v_cmp_eq_u32_e32 vcc, 0, v25
	v_cmp_ne_u64_e64 s[24:25], 0, v[0:1]
	s_and_b64 s[28:29], s[24:25], vcc
	ds_write2_b64 v12, v[4:5], v[8:9] offset0:1 offset1:2
	s_waitcnt lgkmcnt(0)
	s_barrier
	s_waitcnt lgkmcnt(0)
	; wave barrier
	s_and_saveexec_b64 s[24:25], s[28:29]
	s_cbranch_execz .LBB13_25
; %bb.24:                               ;   in Loop: Header=BB13_23 Depth=1
	v_bcnt_u32_b32 v0, v0, 0
	v_bcnt_u32_b32 v0, v1, v0
	ds_write_b32 v24, v0
.LBB13_25:                              ;   in Loop: Header=BB13_23 Depth=1
	s_or_b64 exec, exec, s[24:25]
	v_bfe_u32 v1, v22, s26, 8
	v_lshlrev_b32_e32 v1, 1, v1
	v_add_lshl_u32 v1, v1, v19, 2
	; wave barrier
	v_add_u32_e32 v27, 8, v1
	ds_read_b32 v26, v1 offset:8
	v_bfe_u32 v1, v22, s26, 1
	v_lshrrev_b32_e32 v0, s26, v22
	v_add_co_u32_e32 v2, vcc, -1, v1
	v_addc_co_u32_e64 v3, s[24:25], 0, -1, vcc
	v_cmp_ne_u32_e32 vcc, 0, v1
	v_lshlrev_b32_e32 v11, 30, v0
	v_xor_b32_e32 v1, vcc_hi, v3
	v_not_b32_e32 v3, v11
	v_xor_b32_e32 v2, vcc_lo, v2
	v_cmp_gt_i64_e32 vcc, 0, v[10:11]
	v_ashrrev_i32_e32 v3, 31, v3
	v_and_b32_e32 v1, exec_hi, v1
	v_xor_b32_e32 v11, vcc_hi, v3
	v_and_b32_e32 v2, exec_lo, v2
	v_xor_b32_e32 v3, vcc_lo, v3
	v_and_b32_e32 v1, v1, v11
	v_lshlrev_b32_e32 v11, 29, v0
	v_and_b32_e32 v2, v2, v3
	v_not_b32_e32 v3, v11
	v_cmp_gt_i64_e32 vcc, 0, v[10:11]
	v_ashrrev_i32_e32 v3, 31, v3
	v_xor_b32_e32 v11, vcc_hi, v3
	v_xor_b32_e32 v3, vcc_lo, v3
	v_and_b32_e32 v1, v1, v11
	v_lshlrev_b32_e32 v11, 28, v0
	v_and_b32_e32 v2, v2, v3
	v_not_b32_e32 v3, v11
	v_cmp_gt_i64_e32 vcc, 0, v[10:11]
	v_ashrrev_i32_e32 v3, 31, v3
	v_xor_b32_e32 v11, vcc_hi, v3
	;; [unrolled: 8-line block ×5, first 2 shown]
	v_and_b32_e32 v1, v1, v11
	v_lshlrev_b32_e32 v11, 24, v0
	v_not_b32_e32 v0, v11
	v_xor_b32_e32 v3, vcc_lo, v3
	v_cmp_gt_i64_e32 vcc, 0, v[10:11]
	v_ashrrev_i32_e32 v0, 31, v0
	v_and_b32_e32 v2, v2, v3
	v_xor_b32_e32 v3, vcc_hi, v0
	v_xor_b32_e32 v0, vcc_lo, v0
	v_and_b32_e32 v0, v2, v0
	v_and_b32_e32 v1, v1, v3
	v_mbcnt_lo_u32_b32 v2, v0, 0
	v_mbcnt_hi_u32_b32 v28, v1, v2
	v_cmp_eq_u32_e32 vcc, 0, v28
	v_cmp_ne_u64_e64 s[24:25], 0, v[0:1]
	s_and_b64 s[28:29], s[24:25], vcc
	; wave barrier
	s_and_saveexec_b64 s[24:25], s[28:29]
	s_cbranch_execz .LBB13_27
; %bb.26:                               ;   in Loop: Header=BB13_23 Depth=1
	v_bcnt_u32_b32 v0, v0, 0
	v_bcnt_u32_b32 v0, v1, v0
	s_waitcnt lgkmcnt(0)
	v_add_u32_e32 v0, v26, v0
	ds_write_b32 v27, v0
.LBB13_27:                              ;   in Loop: Header=BB13_23 Depth=1
	s_or_b64 exec, exec, s[24:25]
	v_bfe_u32 v1, v20, s26, 8
	v_lshlrev_b32_e32 v1, 1, v1
	v_add_lshl_u32 v1, v1, v19, 2
	; wave barrier
	v_add_u32_e32 v30, 8, v1
	ds_read_b32 v29, v1 offset:8
	v_bfe_u32 v1, v20, s26, 1
	v_lshrrev_b32_e32 v0, s26, v20
	v_add_co_u32_e32 v2, vcc, -1, v1
	v_addc_co_u32_e64 v3, s[24:25], 0, -1, vcc
	v_cmp_ne_u32_e32 vcc, 0, v1
	v_lshlrev_b32_e32 v11, 30, v0
	v_xor_b32_e32 v1, vcc_hi, v3
	v_not_b32_e32 v3, v11
	v_xor_b32_e32 v2, vcc_lo, v2
	v_cmp_gt_i64_e32 vcc, 0, v[10:11]
	v_ashrrev_i32_e32 v3, 31, v3
	v_and_b32_e32 v1, exec_hi, v1
	v_xor_b32_e32 v11, vcc_hi, v3
	v_and_b32_e32 v2, exec_lo, v2
	v_xor_b32_e32 v3, vcc_lo, v3
	v_and_b32_e32 v1, v1, v11
	v_lshlrev_b32_e32 v11, 29, v0
	v_and_b32_e32 v2, v2, v3
	v_not_b32_e32 v3, v11
	v_cmp_gt_i64_e32 vcc, 0, v[10:11]
	v_ashrrev_i32_e32 v3, 31, v3
	v_xor_b32_e32 v11, vcc_hi, v3
	v_xor_b32_e32 v3, vcc_lo, v3
	v_and_b32_e32 v1, v1, v11
	v_lshlrev_b32_e32 v11, 28, v0
	v_and_b32_e32 v2, v2, v3
	v_not_b32_e32 v3, v11
	v_cmp_gt_i64_e32 vcc, 0, v[10:11]
	v_ashrrev_i32_e32 v3, 31, v3
	v_xor_b32_e32 v11, vcc_hi, v3
	;; [unrolled: 8-line block ×5, first 2 shown]
	v_and_b32_e32 v1, v1, v11
	v_lshlrev_b32_e32 v11, 24, v0
	v_not_b32_e32 v0, v11
	v_xor_b32_e32 v3, vcc_lo, v3
	v_cmp_gt_i64_e32 vcc, 0, v[10:11]
	v_ashrrev_i32_e32 v0, 31, v0
	v_and_b32_e32 v2, v2, v3
	v_xor_b32_e32 v3, vcc_hi, v0
	v_xor_b32_e32 v0, vcc_lo, v0
	v_and_b32_e32 v0, v2, v0
	v_and_b32_e32 v1, v1, v3
	v_mbcnt_lo_u32_b32 v2, v0, 0
	v_mbcnt_hi_u32_b32 v31, v1, v2
	v_cmp_eq_u32_e32 vcc, 0, v31
	v_cmp_ne_u64_e64 s[24:25], 0, v[0:1]
	s_and_b64 s[28:29], s[24:25], vcc
	; wave barrier
	s_and_saveexec_b64 s[24:25], s[28:29]
	s_cbranch_execz .LBB13_29
; %bb.28:                               ;   in Loop: Header=BB13_23 Depth=1
	v_bcnt_u32_b32 v0, v0, 0
	v_bcnt_u32_b32 v0, v1, v0
	s_waitcnt lgkmcnt(0)
	v_add_u32_e32 v0, v29, v0
	ds_write_b32 v30, v0
.LBB13_29:                              ;   in Loop: Header=BB13_23 Depth=1
	s_or_b64 exec, exec, s[24:25]
	v_bfe_u32 v1, v14, s26, 8
	v_lshlrev_b32_e32 v1, 1, v1
	v_add_lshl_u32 v1, v1, v19, 2
	; wave barrier
	v_add_u32_e32 v33, 8, v1
	ds_read_b32 v32, v1 offset:8
	v_bfe_u32 v1, v14, s26, 1
	v_lshrrev_b32_e32 v0, s26, v14
	v_add_co_u32_e32 v2, vcc, -1, v1
	v_addc_co_u32_e64 v3, s[24:25], 0, -1, vcc
	v_cmp_ne_u32_e32 vcc, 0, v1
	v_lshlrev_b32_e32 v11, 30, v0
	v_xor_b32_e32 v1, vcc_hi, v3
	v_not_b32_e32 v3, v11
	v_xor_b32_e32 v2, vcc_lo, v2
	v_cmp_gt_i64_e32 vcc, 0, v[10:11]
	v_ashrrev_i32_e32 v3, 31, v3
	v_and_b32_e32 v1, exec_hi, v1
	v_xor_b32_e32 v11, vcc_hi, v3
	v_and_b32_e32 v2, exec_lo, v2
	v_xor_b32_e32 v3, vcc_lo, v3
	v_and_b32_e32 v1, v1, v11
	v_lshlrev_b32_e32 v11, 29, v0
	v_and_b32_e32 v2, v2, v3
	v_not_b32_e32 v3, v11
	v_cmp_gt_i64_e32 vcc, 0, v[10:11]
	v_ashrrev_i32_e32 v3, 31, v3
	v_xor_b32_e32 v11, vcc_hi, v3
	v_xor_b32_e32 v3, vcc_lo, v3
	v_and_b32_e32 v1, v1, v11
	v_lshlrev_b32_e32 v11, 28, v0
	v_and_b32_e32 v2, v2, v3
	v_not_b32_e32 v3, v11
	v_cmp_gt_i64_e32 vcc, 0, v[10:11]
	v_ashrrev_i32_e32 v3, 31, v3
	v_xor_b32_e32 v11, vcc_hi, v3
	;; [unrolled: 8-line block ×5, first 2 shown]
	v_and_b32_e32 v1, v1, v11
	v_lshlrev_b32_e32 v11, 24, v0
	v_not_b32_e32 v0, v11
	v_xor_b32_e32 v3, vcc_lo, v3
	v_cmp_gt_i64_e32 vcc, 0, v[10:11]
	v_ashrrev_i32_e32 v0, 31, v0
	v_and_b32_e32 v2, v2, v3
	v_xor_b32_e32 v3, vcc_hi, v0
	v_xor_b32_e32 v0, vcc_lo, v0
	v_and_b32_e32 v0, v2, v0
	v_and_b32_e32 v1, v1, v3
	v_mbcnt_lo_u32_b32 v2, v0, 0
	v_mbcnt_hi_u32_b32 v11, v1, v2
	v_cmp_eq_u32_e32 vcc, 0, v11
	v_cmp_ne_u64_e64 s[24:25], 0, v[0:1]
	s_and_b64 s[28:29], s[24:25], vcc
	; wave barrier
	s_and_saveexec_b64 s[24:25], s[28:29]
	s_cbranch_execz .LBB13_31
; %bb.30:                               ;   in Loop: Header=BB13_23 Depth=1
	v_bcnt_u32_b32 v0, v0, 0
	v_bcnt_u32_b32 v0, v1, v0
	s_waitcnt lgkmcnt(0)
	v_add_u32_e32 v0, v32, v0
	ds_write_b32 v33, v0
.LBB13_31:                              ;   in Loop: Header=BB13_23 Depth=1
	s_or_b64 exec, exec, s[24:25]
	; wave barrier
	s_waitcnt lgkmcnt(0)
	s_barrier
	ds_read2_b64 v[0:3], v12 offset0:1 offset1:2
	s_waitcnt lgkmcnt(0)
	v_add_u32_e32 v34, v1, v0
	v_add3_u32 v3, v34, v2, v3
	s_nop 1
	v_mov_b32_dpp v34, v3 row_shr:1 row_mask:0xf bank_mask:0xf
	v_cndmask_b32_e64 v34, v34, 0, s[0:1]
	v_add_u32_e32 v3, v34, v3
	s_nop 1
	v_mov_b32_dpp v34, v3 row_shr:2 row_mask:0xf bank_mask:0xf
	v_cndmask_b32_e64 v34, 0, v34, s[2:3]
	v_add_u32_e32 v3, v3, v34
	;; [unrolled: 4-line block ×4, first 2 shown]
	s_nop 1
	v_mov_b32_dpp v34, v3 row_bcast:15 row_mask:0xf bank_mask:0xf
	v_cndmask_b32_e64 v34, v34, 0, s[8:9]
	v_add_u32_e32 v3, v3, v34
	s_nop 1
	v_mov_b32_dpp v34, v3 row_bcast:31 row_mask:0xf bank_mask:0xf
	v_cndmask_b32_e64 v34, 0, v34, s[10:11]
	v_add_u32_e32 v3, v3, v34
	s_and_saveexec_b64 s[24:25], s[12:13]
	s_cbranch_execz .LBB13_33
; %bb.32:                               ;   in Loop: Header=BB13_23 Depth=1
	ds_write_b32 v16, v3
.LBB13_33:                              ;   in Loop: Header=BB13_23 Depth=1
	s_or_b64 exec, exec, s[24:25]
	s_waitcnt lgkmcnt(0)
	s_barrier
	s_and_saveexec_b64 s[24:25], s[14:15]
	s_cbranch_execz .LBB13_35
; %bb.34:                               ;   in Loop: Header=BB13_23 Depth=1
	ds_read_b32 v34, v21
	s_waitcnt lgkmcnt(0)
	s_nop 0
	v_mov_b32_dpp v35, v34 row_shr:1 row_mask:0xf bank_mask:0xf
	v_cndmask_b32_e64 v35, v35, 0, s[22:23]
	v_add_u32_e32 v34, v35, v34
	ds_write_b32 v21, v34
.LBB13_35:                              ;   in Loop: Header=BB13_23 Depth=1
	s_or_b64 exec, exec, s[24:25]
	v_mov_b32_e32 v34, 0
	s_waitcnt lgkmcnt(0)
	s_barrier
	s_and_saveexec_b64 s[24:25], s[16:17]
	s_cbranch_execz .LBB13_37
; %bb.36:                               ;   in Loop: Header=BB13_23 Depth=1
	ds_read_b32 v34, v17
.LBB13_37:                              ;   in Loop: Header=BB13_23 Depth=1
	s_or_b64 exec, exec, s[24:25]
	s_waitcnt lgkmcnt(0)
	v_add_u32_e32 v3, v34, v3
	ds_bpermute_b32 v3, v15, v3
	s_cmp_gt_u32 s26, 23
	s_waitcnt lgkmcnt(0)
	v_cndmask_b32_e64 v3, v3, v34, s[18:19]
	v_cndmask_b32_e64 v34, v3, 0, s[20:21]
	v_add_u32_e32 v35, v34, v0
	v_add_u32_e32 v0, v35, v1
	;; [unrolled: 1-line block ×3, first 2 shown]
	ds_write2_b64 v12, v[34:35], v[0:1] offset0:1 offset1:2
	s_waitcnt lgkmcnt(0)
	s_barrier
	ds_read_b32 v0, v24
	ds_read_b32 v1, v27
	;; [unrolled: 1-line block ×4, first 2 shown]
	s_waitcnt lgkmcnt(3)
	v_add_u32_e32 v27, v0, v25
	s_waitcnt lgkmcnt(2)
	v_add3_u32 v25, v28, v26, v1
	s_waitcnt lgkmcnt(1)
	v_add3_u32 v24, v31, v29, v2
	;; [unrolled: 2-line block ×3, first 2 shown]
	s_cbranch_scc0 .LBB13_22
; %bb.38:
                                        ; implicit-def: $vgpr3
                                        ; implicit-def: $vgpr1
                                        ; implicit-def: $sgpr26
.LBB13_39:
	v_lshlrev_b32_e32 v3, 2, v27
	s_barrier
	ds_write_b32 v3, v23
	v_lshlrev_b32_e32 v3, 2, v25
	ds_write_b32 v3, v22
	v_lshlrev_b32_e32 v3, 2, v24
	;; [unrolled: 2-line block ×3, first 2 shown]
	v_or_b32_e32 v2, 1, v13
	v_or_b32_e32 v1, 2, v13
	;; [unrolled: 1-line block ×3, first 2 shown]
	ds_write_b32 v3, v14
	s_waitcnt lgkmcnt(0)
	s_barrier
.LBB13_40:
	v_lshlrev_b32_e32 v2, 2, v2
	ds_read_b32 v2, v2
	v_lshlrev_b32_e32 v1, 2, v1
	v_lshlrev_b32_e32 v0, 2, v0
	ds_read_b32 v3, v12
	ds_read_b32 v4, v0
	ds_read_b32 v5, v1
	s_waitcnt lgkmcnt(3)
	v_xor_b32_e32 v1, 0x80000000, v2
	s_waitcnt lgkmcnt(2)
	v_xor_b32_e32 v0, 0x80000000, v3
	;; [unrolled: 2-line block ×4, first 2 shown]
	global_store_dwordx4 v[6:7], v[0:3], off
	s_endpgm
	.section	.rodata,"a",@progbits
	.p2align	6, 0x0
	.amdhsa_kernel _Z15sort_key_kernelILj128ELj4ELb0ELb0EiEvPT3_jj
		.amdhsa_group_segment_fixed_size 2064
		.amdhsa_private_segment_fixed_size 0
		.amdhsa_kernarg_size 272
		.amdhsa_user_sgpr_count 6
		.amdhsa_user_sgpr_private_segment_buffer 1
		.amdhsa_user_sgpr_dispatch_ptr 0
		.amdhsa_user_sgpr_queue_ptr 0
		.amdhsa_user_sgpr_kernarg_segment_ptr 1
		.amdhsa_user_sgpr_dispatch_id 0
		.amdhsa_user_sgpr_flat_scratch_init 0
		.amdhsa_user_sgpr_kernarg_preload_length 0
		.amdhsa_user_sgpr_kernarg_preload_offset 0
		.amdhsa_user_sgpr_private_segment_size 0
		.amdhsa_uses_dynamic_stack 0
		.amdhsa_system_sgpr_private_segment_wavefront_offset 0
		.amdhsa_system_sgpr_workgroup_id_x 1
		.amdhsa_system_sgpr_workgroup_id_y 0
		.amdhsa_system_sgpr_workgroup_id_z 0
		.amdhsa_system_sgpr_workgroup_info 0
		.amdhsa_system_vgpr_workitem_id 2
		.amdhsa_next_free_vgpr 54
		.amdhsa_next_free_sgpr 42
		.amdhsa_accum_offset 56
		.amdhsa_reserve_vcc 1
		.amdhsa_reserve_flat_scratch 0
		.amdhsa_float_round_mode_32 0
		.amdhsa_float_round_mode_16_64 0
		.amdhsa_float_denorm_mode_32 3
		.amdhsa_float_denorm_mode_16_64 3
		.amdhsa_dx10_clamp 1
		.amdhsa_ieee_mode 1
		.amdhsa_fp16_overflow 0
		.amdhsa_tg_split 0
		.amdhsa_exception_fp_ieee_invalid_op 0
		.amdhsa_exception_fp_denorm_src 0
		.amdhsa_exception_fp_ieee_div_zero 0
		.amdhsa_exception_fp_ieee_overflow 0
		.amdhsa_exception_fp_ieee_underflow 0
		.amdhsa_exception_fp_ieee_inexact 0
		.amdhsa_exception_int_div_zero 0
	.end_amdhsa_kernel
	.section	.text._Z15sort_key_kernelILj128ELj4ELb0ELb0EiEvPT3_jj,"axG",@progbits,_Z15sort_key_kernelILj128ELj4ELb0ELb0EiEvPT3_jj,comdat
.Lfunc_end13:
	.size	_Z15sort_key_kernelILj128ELj4ELb0ELb0EiEvPT3_jj, .Lfunc_end13-_Z15sort_key_kernelILj128ELj4ELb0ELb0EiEvPT3_jj
                                        ; -- End function
	.section	.AMDGPU.csdata,"",@progbits
; Kernel info:
; codeLenInByte = 5648
; NumSgprs: 46
; NumVgprs: 54
; NumAgprs: 0
; TotalNumVgprs: 54
; ScratchSize: 0
; MemoryBound: 0
; FloatMode: 240
; IeeeMode: 1
; LDSByteSize: 2064 bytes/workgroup (compile time only)
; SGPRBlocks: 5
; VGPRBlocks: 6
; NumSGPRsForWavesPerEU: 46
; NumVGPRsForWavesPerEU: 54
; AccumOffset: 56
; Occupancy: 8
; WaveLimiterHint : 0
; COMPUTE_PGM_RSRC2:SCRATCH_EN: 0
; COMPUTE_PGM_RSRC2:USER_SGPR: 6
; COMPUTE_PGM_RSRC2:TRAP_HANDLER: 0
; COMPUTE_PGM_RSRC2:TGID_X_EN: 1
; COMPUTE_PGM_RSRC2:TGID_Y_EN: 0
; COMPUTE_PGM_RSRC2:TGID_Z_EN: 0
; COMPUTE_PGM_RSRC2:TIDIG_COMP_CNT: 2
; COMPUTE_PGM_RSRC3_GFX90A:ACCUM_OFFSET: 13
; COMPUTE_PGM_RSRC3_GFX90A:TG_SPLIT: 0
	.section	.text._Z15sort_key_kernelILj64ELj2ELb0ELb1EfEvPT3_jj,"axG",@progbits,_Z15sort_key_kernelILj64ELj2ELb0ELb1EfEvPT3_jj,comdat
	.protected	_Z15sort_key_kernelILj64ELj2ELb0ELb1EfEvPT3_jj ; -- Begin function _Z15sort_key_kernelILj64ELj2ELb0ELb1EfEvPT3_jj
	.globl	_Z15sort_key_kernelILj64ELj2ELb0ELb1EfEvPT3_jj
	.p2align	8
	.type	_Z15sort_key_kernelILj64ELj2ELb0ELb1EfEvPT3_jj,@function
_Z15sort_key_kernelILj64ELj2ELb0ELb1EfEvPT3_jj: ; @_Z15sort_key_kernelILj64ELj2ELb0ELb1EfEvPT3_jj
; %bb.0:
	s_load_dwordx4 s[24:27], s[4:5], 0x0
	s_lshl_b32 s0, s6, 7
	s_mov_b32 s1, 0
	s_lshl_b64 s[0:1], s[0:1], 2
	v_and_b32_e32 v2, 0x3ff, v0
	s_waitcnt lgkmcnt(0)
	s_add_u32 s10, s24, s0
	s_addc_u32 s11, s25, s1
	v_lshlrev_b32_e32 v1, 3, v2
	global_load_dwordx2 v[4:5], v1, s[10:11]
	v_mbcnt_lo_u32_b32 v3, -1, 0
	v_mbcnt_hi_u32_b32 v13, -1, v3
	v_bfe_u32 v3, v0, 20, 10
	v_bfe_u32 v12, v0, 10, 10
	v_lshrrev_b32_e32 v0, 1, v13
	v_and_b32_e32 v6, 1, v13
	v_and_or_b32 v0, v13, 64, v0
	s_cmp_lg_u32 s26, 0
	v_cmp_eq_u32_e64 s[0:1], 0, v6
	v_lshlrev_b32_e32 v19, 2, v0
	v_mov_b32_e32 v6, s11
	v_add_co_u32_e32 v0, vcc, s10, v1
	s_cselect_b64 s[10:11], -1, 0
	s_cmp_lg_u32 s27, 32
	s_cselect_b64 s[12:13], -1, 0
	s_or_b64 s[10:11], s[10:11], s[12:13]
	s_add_u32 s24, s4, 16
	v_bfrev_b32_e32 v20, -2
	s_addc_u32 s25, s5, 0
	v_addc_co_u32_e32 v1, vcc, 0, v6, vcc
	s_mov_b64 s[8:9], -1
	v_lshlrev_b32_e32 v10, 1, v2
	v_lshlrev_b32_e32 v11, 4, v2
	v_and_b32_e32 v15, 15, v13
	v_and_b32_e32 v16, 16, v13
	v_cmp_lt_u32_e64 s[2:3], 31, v13
	v_cmp_eq_u32_e64 s[22:23], 63, v2
	v_add_u32_e32 v14, -1, v13
	v_and_b32_e32 v17, 64, v13
	v_cmp_eq_u32_e64 s[16:17], 0, v13
	v_cmp_eq_u32_e64 s[18:19], 0, v2
	v_xor_b32_e32 v18, 0x80, v19
	s_and_b64 vcc, exec, s[10:11]
	s_waitcnt vmcnt(0)
	v_cmp_gt_i32_e64 s[4:5], 0, v4
	v_cndmask_b32_e64 v6, v20, 0, s[4:5]
	v_cmp_gt_i32_e64 s[4:5], 0, v5
	v_cndmask_b32_e64 v7, v20, 0, s[4:5]
	v_xor_b32_e32 v21, v6, v4
	v_xor_b32_e32 v22, v7, v5
	s_cbranch_vccz .LBB14_12
; %bb.1:
	; wave barrier
	s_load_dword s4, s[24:25], 0x4
	s_load_dword s28, s[24:25], 0xc
	v_mov_b32_e32 v4, 0
	ds_bpermute_b32 v6, v19, v21
	ds_bpermute_b32 v7, v19, v22
	s_waitcnt lgkmcnt(0)
	s_cmp_lt_u32 s7, s4
	s_cselect_b32 s4, 14, 20
	s_add_u32 s4, s24, s4
	s_addc_u32 s5, s25, 0
	global_load_ushort v5, v4, s[4:5]
	ds_bpermute_b32 v8, v18, v21
	ds_bpermute_b32 v9, v18, v22
	s_movk_i32 s4, 0x780
	v_cmp_lt_i32_e32 vcc, v14, v17
	v_and_or_b32 v25, v10, s4, v13
	s_and_b32 s4, s28, 0xffff
	v_cndmask_b32_e32 v24, v14, v13, vcc
	v_cndmask_b32_e64 v6, v7, v6, s[0:1]
	s_waitcnt lgkmcnt(0)
	v_cndmask_b32_e64 v7, v9, v8, s[0:1]
	v_or_b32_e32 v23, 4, v11
	v_cmp_eq_u32_e64 s[20:21], 0, v15
	v_cmp_lt_u32_e64 s[8:9], 1, v15
	v_cmp_lt_u32_e64 s[10:11], 3, v15
	;; [unrolled: 1-line block ×3, first 2 shown]
	v_cmp_eq_u32_e64 s[14:15], 0, v16
	v_lshlrev_b32_e32 v24, 2, v24
	v_lshlrev_b32_e32 v25, 2, v25
	s_or_b64 s[16:17], s[18:19], s[16:17]
	s_sub_i32 s19, s27, s26
	s_brev_b32 s18, 1
	s_waitcnt vmcnt(0)
	v_mad_u32_u24 v5, v3, v5, v12
	v_mad_u64_u32 v[8:9], s[4:5], v5, s4, v[2:3]
	v_lshrrev_b32_e32 v26, 6, v8
	s_branch .LBB14_3
.LBB14_2:                               ;   in Loop: Header=BB14_3 Depth=1
	; wave barrier
	ds_write_b32 v8, v28
	ds_write_b32 v5, v27
	s_waitcnt lgkmcnt(0)
	; wave barrier
	s_waitcnt lgkmcnt(0)
	ds_read2st64_b32 v[6:7], v25 offset1:1
	s_add_i32 s19, s19, -8
	s_waitcnt lgkmcnt(0)
	; wave barrier
	s_waitcnt lgkmcnt(0)
	s_cbranch_execz .LBB14_11
.LBB14_3:                               ; =>This Inner Loop Header: Depth=1
	v_mov_b32_e32 v28, v6
	s_min_u32 s4, s19, 8
	v_cmp_ne_u32_e32 vcc, s18, v28
	s_lshl_b32 s4, -1, s4
	v_cndmask_b32_e32 v5, v20, v28, vcc
	s_not_b32 s28, s4
	v_lshrrev_b32_e32 v5, s26, v5
	v_and_b32_e32 v6, s28, v5
	v_add_u32_e32 v5, v6, v26
	v_lshl_add_u32 v29, v5, 2, 4
	v_and_b32_e32 v5, 1, v6
	v_mov_b32_e32 v27, v7
	v_add_co_u32_e32 v7, vcc, -1, v5
	v_addc_co_u32_e64 v8, s[4:5], 0, -1, vcc
	v_cmp_ne_u32_e32 vcc, 0, v5
	v_xor_b32_e32 v5, vcc_hi, v8
	v_and_b32_e32 v8, exec_hi, v5
	v_lshlrev_b32_e32 v5, 30, v6
	v_xor_b32_e32 v7, vcc_lo, v7
	v_cmp_gt_i64_e32 vcc, 0, v[4:5]
	v_not_b32_e32 v5, v5
	v_ashrrev_i32_e32 v5, 31, v5
	v_and_b32_e32 v7, exec_lo, v7
	v_xor_b32_e32 v9, vcc_hi, v5
	v_xor_b32_e32 v5, vcc_lo, v5
	v_and_b32_e32 v7, v7, v5
	v_lshlrev_b32_e32 v5, 29, v6
	v_cmp_gt_i64_e32 vcc, 0, v[4:5]
	v_not_b32_e32 v5, v5
	v_ashrrev_i32_e32 v5, 31, v5
	v_and_b32_e32 v8, v8, v9
	v_xor_b32_e32 v9, vcc_hi, v5
	v_xor_b32_e32 v5, vcc_lo, v5
	v_and_b32_e32 v7, v7, v5
	v_lshlrev_b32_e32 v5, 28, v6
	v_cmp_gt_i64_e32 vcc, 0, v[4:5]
	v_not_b32_e32 v5, v5
	v_ashrrev_i32_e32 v5, 31, v5
	v_and_b32_e32 v8, v8, v9
	;; [unrolled: 8-line block ×5, first 2 shown]
	v_xor_b32_e32 v9, vcc_hi, v5
	v_xor_b32_e32 v5, vcc_lo, v5
	v_and_b32_e32 v8, v8, v9
	v_and_b32_e32 v9, v7, v5
	v_lshlrev_b32_e32 v5, 24, v6
	v_cmp_gt_i64_e32 vcc, 0, v[4:5]
	v_not_b32_e32 v5, v5
	v_ashrrev_i32_e32 v5, 31, v5
	v_xor_b32_e32 v6, vcc_hi, v5
	v_xor_b32_e32 v5, vcc_lo, v5
	v_and_b32_e32 v7, v8, v6
	v_and_b32_e32 v6, v9, v5
	v_mbcnt_lo_u32_b32 v5, v6, 0
	v_mbcnt_hi_u32_b32 v30, v7, v5
	v_cmp_eq_u32_e32 vcc, 0, v30
	v_cmp_ne_u64_e64 s[4:5], 0, v[6:7]
	s_and_b64 s[30:31], s[4:5], vcc
	ds_write2_b32 v11, v4, v4 offset0:1 offset1:2
	ds_write2_b32 v23, v4, v4 offset0:2 offset1:3
	s_waitcnt lgkmcnt(0)
	; wave barrier
	s_waitcnt lgkmcnt(0)
	; wave barrier
	s_and_saveexec_b64 s[4:5], s[30:31]
	s_cbranch_execz .LBB14_5
; %bb.4:                                ;   in Loop: Header=BB14_3 Depth=1
	v_bcnt_u32_b32 v5, v6, 0
	v_bcnt_u32_b32 v5, v7, v5
	ds_write_b32 v29, v5
.LBB14_5:                               ;   in Loop: Header=BB14_3 Depth=1
	s_or_b64 exec, exec, s[4:5]
	v_cmp_ne_u32_e32 vcc, s18, v27
	v_cndmask_b32_e32 v5, v20, v27, vcc
	v_lshrrev_b32_e32 v5, s26, v5
	v_and_b32_e32 v6, s28, v5
	v_add_lshl_u32 v5, v6, v26, 2
	; wave barrier
	v_add_u32_e32 v32, 4, v5
	ds_read_b32 v31, v5 offset:4
	v_and_b32_e32 v5, 1, v6
	v_add_co_u32_e32 v7, vcc, -1, v5
	v_addc_co_u32_e64 v8, s[4:5], 0, -1, vcc
	v_cmp_ne_u32_e32 vcc, 0, v5
	v_xor_b32_e32 v5, vcc_hi, v8
	v_and_b32_e32 v8, exec_hi, v5
	v_lshlrev_b32_e32 v5, 30, v6
	v_xor_b32_e32 v7, vcc_lo, v7
	v_cmp_gt_i64_e32 vcc, 0, v[4:5]
	v_not_b32_e32 v5, v5
	v_ashrrev_i32_e32 v5, 31, v5
	v_and_b32_e32 v7, exec_lo, v7
	v_xor_b32_e32 v9, vcc_hi, v5
	v_xor_b32_e32 v5, vcc_lo, v5
	v_and_b32_e32 v7, v7, v5
	v_lshlrev_b32_e32 v5, 29, v6
	v_cmp_gt_i64_e32 vcc, 0, v[4:5]
	v_not_b32_e32 v5, v5
	v_ashrrev_i32_e32 v5, 31, v5
	v_and_b32_e32 v8, v8, v9
	v_xor_b32_e32 v9, vcc_hi, v5
	v_xor_b32_e32 v5, vcc_lo, v5
	v_and_b32_e32 v7, v7, v5
	v_lshlrev_b32_e32 v5, 28, v6
	v_cmp_gt_i64_e32 vcc, 0, v[4:5]
	v_not_b32_e32 v5, v5
	v_ashrrev_i32_e32 v5, 31, v5
	v_and_b32_e32 v8, v8, v9
	;; [unrolled: 8-line block ×5, first 2 shown]
	v_xor_b32_e32 v9, vcc_hi, v5
	v_xor_b32_e32 v5, vcc_lo, v5
	v_and_b32_e32 v8, v8, v9
	v_and_b32_e32 v9, v7, v5
	v_lshlrev_b32_e32 v5, 24, v6
	v_cmp_gt_i64_e32 vcc, 0, v[4:5]
	v_not_b32_e32 v5, v5
	v_ashrrev_i32_e32 v5, 31, v5
	v_xor_b32_e32 v6, vcc_hi, v5
	v_xor_b32_e32 v5, vcc_lo, v5
	v_and_b32_e32 v7, v8, v6
	v_and_b32_e32 v6, v9, v5
	v_mbcnt_lo_u32_b32 v5, v6, 0
	v_mbcnt_hi_u32_b32 v5, v7, v5
	v_cmp_eq_u32_e32 vcc, 0, v5
	v_cmp_ne_u64_e64 s[4:5], 0, v[6:7]
	s_and_b64 s[28:29], s[4:5], vcc
	; wave barrier
	s_and_saveexec_b64 s[4:5], s[28:29]
	s_cbranch_execz .LBB14_7
; %bb.6:                                ;   in Loop: Header=BB14_3 Depth=1
	v_bcnt_u32_b32 v6, v6, 0
	v_bcnt_u32_b32 v6, v7, v6
	s_waitcnt lgkmcnt(0)
	v_add_u32_e32 v6, v31, v6
	ds_write_b32 v32, v6
.LBB14_7:                               ;   in Loop: Header=BB14_3 Depth=1
	s_or_b64 exec, exec, s[4:5]
	; wave barrier
	s_waitcnt lgkmcnt(0)
	; wave barrier
	s_waitcnt lgkmcnt(0)
	ds_read2_b32 v[8:9], v11 offset0:1 offset1:2
	ds_read2_b32 v[6:7], v23 offset0:2 offset1:3
	s_waitcnt lgkmcnt(1)
	v_add_u32_e32 v33, v9, v8
	s_waitcnt lgkmcnt(0)
	v_add3_u32 v7, v33, v6, v7
	s_nop 1
	v_mov_b32_dpp v33, v7 row_shr:1 row_mask:0xf bank_mask:0xf
	v_cndmask_b32_e64 v33, v33, 0, s[20:21]
	v_add_u32_e32 v7, v33, v7
	s_nop 1
	v_mov_b32_dpp v33, v7 row_shr:2 row_mask:0xf bank_mask:0xf
	v_cndmask_b32_e64 v33, 0, v33, s[8:9]
	v_add_u32_e32 v7, v7, v33
	;; [unrolled: 4-line block ×4, first 2 shown]
	s_nop 1
	v_mov_b32_dpp v33, v7 row_bcast:15 row_mask:0xf bank_mask:0xf
	v_cndmask_b32_e64 v33, v33, 0, s[14:15]
	v_add_u32_e32 v7, v7, v33
	s_nop 1
	v_mov_b32_dpp v33, v7 row_bcast:31 row_mask:0xf bank_mask:0xf
	v_cndmask_b32_e64 v33, 0, v33, s[2:3]
	v_add_u32_e32 v7, v7, v33
	s_and_saveexec_b64 s[4:5], s[22:23]
	s_cbranch_execz .LBB14_9
; %bb.8:                                ;   in Loop: Header=BB14_3 Depth=1
	ds_write_b32 v4, v7
.LBB14_9:                               ;   in Loop: Header=BB14_3 Depth=1
	s_or_b64 exec, exec, s[4:5]
	ds_bpermute_b32 v7, v24, v7
	s_waitcnt lgkmcnt(0)
	; wave barrier
	s_waitcnt lgkmcnt(0)
	s_add_i32 s26, s26, 8
	v_lshlrev_b32_e32 v5, 2, v5
	v_cndmask_b32_e64 v7, v7, 0, s[16:17]
	v_add_u32_e32 v8, v7, v8
	v_add_u32_e32 v9, v8, v9
	;; [unrolled: 1-line block ×3, first 2 shown]
	ds_write2_b32 v11, v7, v8 offset0:1 offset1:2
	ds_write2_b32 v23, v9, v6 offset0:2 offset1:3
	s_waitcnt lgkmcnt(0)
	; wave barrier
	s_waitcnt lgkmcnt(0)
	ds_read_b32 v6, v29
	ds_read_b32 v7, v32
	v_lshlrev_b32_e32 v8, 2, v30
	s_cmp_ge_u32 s26, s27
	s_waitcnt lgkmcnt(0)
	v_lshl_add_u32 v8, v6, 2, v8
	v_lshlrev_b32_e32 v6, 2, v31
	v_lshlrev_b32_e32 v7, 2, v7
	v_add3_u32 v5, v5, v6, v7
	s_cbranch_scc0 .LBB14_2
; %bb.10:
                                        ; implicit-def: $vgpr7
                                        ; implicit-def: $sgpr19
.LBB14_11:
	s_mov_b64 s[8:9], 0
	; wave barrier
	ds_write_b32 v8, v28
	ds_write_b32 v5, v27
	s_waitcnt lgkmcnt(0)
	; wave barrier
.LBB14_12:
	s_and_b64 vcc, exec, s[8:9]
	s_cbranch_vccz .LBB14_24
; %bb.13:
	; wave barrier
	s_waitcnt lgkmcnt(0)
	s_load_dwordx2 s[2:3], s[24:25], 0x0
	v_mov_b32_e32 v4, 0
	ds_bpermute_b32 v6, v19, v21
	ds_bpermute_b32 v7, v19, v22
	;; [unrolled: 1-line block ×3, first 2 shown]
	s_waitcnt lgkmcnt(0)
	s_cmp_lt_u32 s6, s2
	s_cselect_b32 s4, 12, 18
	s_cmp_lt_u32 s7, s3
	s_cselect_b32 s2, 14, 20
	s_add_u32 s2, s24, s2
	s_addc_u32 s3, s25, 0
	s_add_u32 s4, s24, s4
	global_load_ushort v5, v4, s[2:3]
	s_addc_u32 s5, s25, 0
	global_load_ushort v20, v4, s[4:5]
	ds_bpermute_b32 v18, v18, v22
	v_cmp_lt_i32_e32 vcc, v14, v17
	s_movk_i32 s20, 0x780
	v_cmp_lt_u32_e64 s[12:13], 31, v13
	v_cmp_eq_u32_e64 s[14:15], 63, v2
	v_cndmask_b32_e32 v9, v14, v13, vcc
	v_cmp_eq_u32_e32 vcc, 0, v13
	v_cmp_eq_u32_e64 s[16:17], 0, v2
	v_and_or_b32 v13, v10, s20, v13
	v_cndmask_b32_e64 v6, v7, v6, s[0:1]
	s_waitcnt lgkmcnt(0)
	v_cndmask_b32_e64 v7, v18, v19, s[0:1]
	s_mov_b32 s18, 0
	v_or_b32_e32 v8, 4, v11
	v_cmp_eq_u32_e64 s[2:3], 0, v15
	v_cmp_lt_u32_e64 s[4:5], 1, v15
	v_cmp_lt_u32_e64 s[6:7], 3, v15
	;; [unrolled: 1-line block ×3, first 2 shown]
	v_cmp_eq_u32_e64 s[10:11], 0, v16
	s_brev_b32 s19, 1
	v_lshlrev_b32_e32 v9, 2, v9
	v_lshlrev_b32_e32 v13, 2, v13
	s_or_b64 s[16:17], s[16:17], vcc
	v_bfrev_b32_e32 v15, -2
	s_waitcnt vmcnt(1)
	v_mad_u32_u24 v3, v3, v5, v12
	s_waitcnt vmcnt(0)
	v_mad_u64_u32 v[2:3], s[0:1], v3, v20, v[2:3]
	v_lshrrev_b32_e32 v14, 6, v2
	s_branch .LBB14_15
.LBB14_14:                              ;   in Loop: Header=BB14_15 Depth=1
	v_lshlrev_b32_e32 v5, 2, v3
	s_waitcnt lgkmcnt(0)
	; wave barrier
	ds_write_b32 v5, v16
	v_lshlrev_b32_e32 v5, 2, v2
	ds_write_b32 v5, v12
	s_waitcnt lgkmcnt(0)
	; wave barrier
	s_waitcnt lgkmcnt(0)
	ds_read2st64_b32 v[6:7], v13 offset1:1
	s_add_i32 s18, s18, 8
	s_waitcnt lgkmcnt(0)
	; wave barrier
	s_waitcnt lgkmcnt(0)
	s_cbranch_execz .LBB14_23
.LBB14_15:                              ; =>This Inner Loop Header: Depth=1
	v_mov_b32_e32 v16, v6
	v_cmp_ne_u32_e32 vcc, s19, v16
	v_cndmask_b32_e32 v2, v15, v16, vcc
	v_bfe_u32 v5, v2, s18, 8
	v_lshrrev_b32_e32 v3, s18, v2
	v_add_u32_e32 v5, v5, v14
	v_bfe_u32 v2, v2, s18, 1
	v_lshl_add_u32 v17, v5, 2, 4
	v_add_co_u32_e32 v5, vcc, -1, v2
	v_addc_co_u32_e64 v6, s[0:1], 0, -1, vcc
	v_cmp_ne_u32_e32 vcc, 0, v2
	v_xor_b32_e32 v5, vcc_lo, v5
	v_xor_b32_e32 v2, vcc_hi, v6
	v_and_b32_e32 v6, exec_lo, v5
	v_lshlrev_b32_e32 v5, 30, v3
	v_cmp_gt_i64_e32 vcc, 0, v[4:5]
	v_not_b32_e32 v5, v5
	v_ashrrev_i32_e32 v5, 31, v5
	v_mov_b32_e32 v12, v7
	v_xor_b32_e32 v7, vcc_hi, v5
	v_xor_b32_e32 v5, vcc_lo, v5
	v_and_b32_e32 v6, v6, v5
	v_lshlrev_b32_e32 v5, 29, v3
	v_cmp_gt_i64_e32 vcc, 0, v[4:5]
	v_not_b32_e32 v5, v5
	v_and_b32_e32 v2, exec_hi, v2
	v_ashrrev_i32_e32 v5, 31, v5
	v_and_b32_e32 v2, v2, v7
	v_xor_b32_e32 v7, vcc_hi, v5
	v_xor_b32_e32 v5, vcc_lo, v5
	v_and_b32_e32 v6, v6, v5
	v_lshlrev_b32_e32 v5, 28, v3
	v_cmp_gt_i64_e32 vcc, 0, v[4:5]
	v_not_b32_e32 v5, v5
	v_ashrrev_i32_e32 v5, 31, v5
	v_and_b32_e32 v2, v2, v7
	v_xor_b32_e32 v7, vcc_hi, v5
	v_xor_b32_e32 v5, vcc_lo, v5
	v_and_b32_e32 v6, v6, v5
	v_lshlrev_b32_e32 v5, 27, v3
	v_cmp_gt_i64_e32 vcc, 0, v[4:5]
	v_not_b32_e32 v5, v5
	;; [unrolled: 8-line block ×4, first 2 shown]
	v_ashrrev_i32_e32 v5, 31, v5
	v_and_b32_e32 v2, v2, v7
	v_xor_b32_e32 v7, vcc_hi, v5
	v_xor_b32_e32 v5, vcc_lo, v5
	v_and_b32_e32 v6, v6, v5
	v_lshlrev_b32_e32 v5, 24, v3
	v_not_b32_e32 v3, v5
	v_cmp_gt_i64_e32 vcc, 0, v[4:5]
	v_ashrrev_i32_e32 v3, 31, v3
	v_and_b32_e32 v2, v2, v7
	v_xor_b32_e32 v5, vcc_hi, v3
	v_xor_b32_e32 v7, vcc_lo, v3
	v_and_b32_e32 v3, v2, v5
	v_and_b32_e32 v2, v6, v7
	v_mbcnt_lo_u32_b32 v5, v2, 0
	v_mbcnt_hi_u32_b32 v18, v3, v5
	v_cmp_eq_u32_e32 vcc, 0, v18
	v_cmp_ne_u64_e64 s[0:1], 0, v[2:3]
	s_and_b64 s[20:21], s[0:1], vcc
	ds_write2_b32 v11, v4, v4 offset0:1 offset1:2
	ds_write2_b32 v8, v4, v4 offset0:2 offset1:3
	s_waitcnt lgkmcnt(0)
	; wave barrier
	s_waitcnt lgkmcnt(0)
	; wave barrier
	s_and_saveexec_b64 s[0:1], s[20:21]
	s_cbranch_execz .LBB14_17
; %bb.16:                               ;   in Loop: Header=BB14_15 Depth=1
	v_bcnt_u32_b32 v2, v2, 0
	v_bcnt_u32_b32 v2, v3, v2
	ds_write_b32 v17, v2
.LBB14_17:                              ;   in Loop: Header=BB14_15 Depth=1
	s_or_b64 exec, exec, s[0:1]
	v_cmp_ne_u32_e32 vcc, s19, v12
	v_cndmask_b32_e32 v2, v15, v12, vcc
	v_bfe_u32 v5, v2, s18, 8
	v_lshrrev_b32_e32 v3, s18, v2
	v_add_lshl_u32 v5, v5, v14, 2
	v_bfe_u32 v2, v2, s18, 1
	; wave barrier
	v_add_u32_e32 v20, 4, v5
	ds_read_b32 v19, v5 offset:4
	v_add_co_u32_e32 v5, vcc, -1, v2
	v_addc_co_u32_e64 v6, s[0:1], 0, -1, vcc
	v_cmp_ne_u32_e32 vcc, 0, v2
	v_xor_b32_e32 v5, vcc_lo, v5
	v_xor_b32_e32 v2, vcc_hi, v6
	v_and_b32_e32 v6, exec_lo, v5
	v_lshlrev_b32_e32 v5, 30, v3
	v_cmp_gt_i64_e32 vcc, 0, v[4:5]
	v_not_b32_e32 v5, v5
	v_ashrrev_i32_e32 v5, 31, v5
	v_xor_b32_e32 v7, vcc_hi, v5
	v_xor_b32_e32 v5, vcc_lo, v5
	v_and_b32_e32 v6, v6, v5
	v_lshlrev_b32_e32 v5, 29, v3
	v_cmp_gt_i64_e32 vcc, 0, v[4:5]
	v_not_b32_e32 v5, v5
	v_and_b32_e32 v2, exec_hi, v2
	v_ashrrev_i32_e32 v5, 31, v5
	v_and_b32_e32 v2, v2, v7
	v_xor_b32_e32 v7, vcc_hi, v5
	v_xor_b32_e32 v5, vcc_lo, v5
	v_and_b32_e32 v6, v6, v5
	v_lshlrev_b32_e32 v5, 28, v3
	v_cmp_gt_i64_e32 vcc, 0, v[4:5]
	v_not_b32_e32 v5, v5
	v_ashrrev_i32_e32 v5, 31, v5
	v_and_b32_e32 v2, v2, v7
	v_xor_b32_e32 v7, vcc_hi, v5
	v_xor_b32_e32 v5, vcc_lo, v5
	v_and_b32_e32 v6, v6, v5
	v_lshlrev_b32_e32 v5, 27, v3
	v_cmp_gt_i64_e32 vcc, 0, v[4:5]
	v_not_b32_e32 v5, v5
	;; [unrolled: 8-line block ×4, first 2 shown]
	v_ashrrev_i32_e32 v5, 31, v5
	v_and_b32_e32 v2, v2, v7
	v_xor_b32_e32 v7, vcc_hi, v5
	v_xor_b32_e32 v5, vcc_lo, v5
	v_and_b32_e32 v6, v6, v5
	v_lshlrev_b32_e32 v5, 24, v3
	v_not_b32_e32 v3, v5
	v_cmp_gt_i64_e32 vcc, 0, v[4:5]
	v_ashrrev_i32_e32 v3, 31, v3
	v_and_b32_e32 v2, v2, v7
	v_xor_b32_e32 v5, vcc_hi, v3
	v_xor_b32_e32 v7, vcc_lo, v3
	v_and_b32_e32 v3, v2, v5
	v_and_b32_e32 v2, v6, v7
	v_mbcnt_lo_u32_b32 v5, v2, 0
	v_mbcnt_hi_u32_b32 v5, v3, v5
	v_cmp_eq_u32_e32 vcc, 0, v5
	v_cmp_ne_u64_e64 s[0:1], 0, v[2:3]
	s_and_b64 s[20:21], s[0:1], vcc
	; wave barrier
	s_and_saveexec_b64 s[0:1], s[20:21]
	s_cbranch_execz .LBB14_19
; %bb.18:                               ;   in Loop: Header=BB14_15 Depth=1
	v_bcnt_u32_b32 v2, v2, 0
	v_bcnt_u32_b32 v2, v3, v2
	s_waitcnt lgkmcnt(0)
	v_add_u32_e32 v2, v19, v2
	ds_write_b32 v20, v2
.LBB14_19:                              ;   in Loop: Header=BB14_15 Depth=1
	s_or_b64 exec, exec, s[0:1]
	; wave barrier
	s_waitcnt lgkmcnt(0)
	; wave barrier
	s_waitcnt lgkmcnt(0)
	ds_read2_b32 v[6:7], v11 offset0:1 offset1:2
	ds_read2_b32 v[2:3], v8 offset0:2 offset1:3
	s_waitcnt lgkmcnt(1)
	v_add_u32_e32 v21, v7, v6
	s_waitcnt lgkmcnt(0)
	v_add3_u32 v3, v21, v2, v3
	s_nop 1
	v_mov_b32_dpp v21, v3 row_shr:1 row_mask:0xf bank_mask:0xf
	v_cndmask_b32_e64 v21, v21, 0, s[2:3]
	v_add_u32_e32 v3, v21, v3
	s_nop 1
	v_mov_b32_dpp v21, v3 row_shr:2 row_mask:0xf bank_mask:0xf
	v_cndmask_b32_e64 v21, 0, v21, s[4:5]
	v_add_u32_e32 v3, v3, v21
	;; [unrolled: 4-line block ×4, first 2 shown]
	s_nop 1
	v_mov_b32_dpp v21, v3 row_bcast:15 row_mask:0xf bank_mask:0xf
	v_cndmask_b32_e64 v21, v21, 0, s[10:11]
	v_add_u32_e32 v3, v3, v21
	s_nop 1
	v_mov_b32_dpp v21, v3 row_bcast:31 row_mask:0xf bank_mask:0xf
	v_cndmask_b32_e64 v21, 0, v21, s[12:13]
	v_add_u32_e32 v3, v3, v21
	s_and_saveexec_b64 s[0:1], s[14:15]
	s_cbranch_execz .LBB14_21
; %bb.20:                               ;   in Loop: Header=BB14_15 Depth=1
	ds_write_b32 v4, v3
.LBB14_21:                              ;   in Loop: Header=BB14_15 Depth=1
	s_or_b64 exec, exec, s[0:1]
	ds_bpermute_b32 v3, v9, v3
	s_waitcnt lgkmcnt(0)
	; wave barrier
	s_waitcnt lgkmcnt(0)
	s_cmp_gt_u32 s18, 23
	v_cndmask_b32_e64 v3, v3, 0, s[16:17]
	v_add_u32_e32 v6, v3, v6
	v_add_u32_e32 v7, v6, v7
	;; [unrolled: 1-line block ×3, first 2 shown]
	ds_write2_b32 v11, v3, v6 offset0:1 offset1:2
	ds_write2_b32 v8, v7, v2 offset0:2 offset1:3
	s_waitcnt lgkmcnt(0)
	; wave barrier
	s_waitcnt lgkmcnt(0)
	ds_read_b32 v2, v17
	ds_read_b32 v6, v20
	s_waitcnt lgkmcnt(1)
	v_add_u32_e32 v3, v2, v18
	s_waitcnt lgkmcnt(0)
	v_add3_u32 v2, v5, v19, v6
	s_cbranch_scc0 .LBB14_14
; %bb.22:
                                        ; implicit-def: $vgpr7
                                        ; implicit-def: $sgpr18
.LBB14_23:
	v_lshlrev_b32_e32 v3, 2, v3
	v_lshlrev_b32_e32 v2, 2, v2
	s_waitcnt lgkmcnt(0)
	; wave barrier
	ds_write_b32 v3, v16
	ds_write_b32 v2, v12
	s_waitcnt lgkmcnt(0)
	; wave barrier
.LBB14_24:
	v_lshlrev_b32_e32 v2, 2, v10
	s_waitcnt lgkmcnt(0)
	ds_read_b64 v[2:3], v2
	v_bfrev_b32_e32 v4, -2
	s_waitcnt lgkmcnt(0)
	v_cmp_gt_i32_e32 vcc, 0, v2
	v_cndmask_b32_e64 v5, v4, 0, vcc
	v_cmp_gt_i32_e32 vcc, 0, v3
	v_cndmask_b32_e64 v4, v4, 0, vcc
	v_xor_b32_e32 v3, v4, v3
	v_xor_b32_e32 v2, v5, v2
	global_store_dwordx2 v[0:1], v[2:3], off
	s_endpgm
	.section	.rodata,"a",@progbits
	.p2align	6, 0x0
	.amdhsa_kernel _Z15sort_key_kernelILj64ELj2ELb0ELb1EfEvPT3_jj
		.amdhsa_group_segment_fixed_size 1040
		.amdhsa_private_segment_fixed_size 0
		.amdhsa_kernarg_size 272
		.amdhsa_user_sgpr_count 6
		.amdhsa_user_sgpr_private_segment_buffer 1
		.amdhsa_user_sgpr_dispatch_ptr 0
		.amdhsa_user_sgpr_queue_ptr 0
		.amdhsa_user_sgpr_kernarg_segment_ptr 1
		.amdhsa_user_sgpr_dispatch_id 0
		.amdhsa_user_sgpr_flat_scratch_init 0
		.amdhsa_user_sgpr_kernarg_preload_length 0
		.amdhsa_user_sgpr_kernarg_preload_offset 0
		.amdhsa_user_sgpr_private_segment_size 0
		.amdhsa_uses_dynamic_stack 0
		.amdhsa_system_sgpr_private_segment_wavefront_offset 0
		.amdhsa_system_sgpr_workgroup_id_x 1
		.amdhsa_system_sgpr_workgroup_id_y 1
		.amdhsa_system_sgpr_workgroup_id_z 0
		.amdhsa_system_sgpr_workgroup_info 0
		.amdhsa_system_vgpr_workitem_id 2
		.amdhsa_next_free_vgpr 34
		.amdhsa_next_free_sgpr 32
		.amdhsa_accum_offset 36
		.amdhsa_reserve_vcc 1
		.amdhsa_reserve_flat_scratch 0
		.amdhsa_float_round_mode_32 0
		.amdhsa_float_round_mode_16_64 0
		.amdhsa_float_denorm_mode_32 3
		.amdhsa_float_denorm_mode_16_64 3
		.amdhsa_dx10_clamp 1
		.amdhsa_ieee_mode 1
		.amdhsa_fp16_overflow 0
		.amdhsa_tg_split 0
		.amdhsa_exception_fp_ieee_invalid_op 0
		.amdhsa_exception_fp_denorm_src 0
		.amdhsa_exception_fp_ieee_div_zero 0
		.amdhsa_exception_fp_ieee_overflow 0
		.amdhsa_exception_fp_ieee_underflow 0
		.amdhsa_exception_fp_ieee_inexact 0
		.amdhsa_exception_int_div_zero 0
	.end_amdhsa_kernel
	.section	.text._Z15sort_key_kernelILj64ELj2ELb0ELb1EfEvPT3_jj,"axG",@progbits,_Z15sort_key_kernelILj64ELj2ELb0ELb1EfEvPT3_jj,comdat
.Lfunc_end14:
	.size	_Z15sort_key_kernelILj64ELj2ELb0ELb1EfEvPT3_jj, .Lfunc_end14-_Z15sort_key_kernelILj64ELj2ELb0ELb1EfEvPT3_jj
                                        ; -- End function
	.section	.AMDGPU.csdata,"",@progbits
; Kernel info:
; codeLenInByte = 3196
; NumSgprs: 36
; NumVgprs: 34
; NumAgprs: 0
; TotalNumVgprs: 34
; ScratchSize: 0
; MemoryBound: 0
; FloatMode: 240
; IeeeMode: 1
; LDSByteSize: 1040 bytes/workgroup (compile time only)
; SGPRBlocks: 4
; VGPRBlocks: 4
; NumSGPRsForWavesPerEU: 36
; NumVGPRsForWavesPerEU: 34
; AccumOffset: 36
; Occupancy: 8
; WaveLimiterHint : 0
; COMPUTE_PGM_RSRC2:SCRATCH_EN: 0
; COMPUTE_PGM_RSRC2:USER_SGPR: 6
; COMPUTE_PGM_RSRC2:TRAP_HANDLER: 0
; COMPUTE_PGM_RSRC2:TGID_X_EN: 1
; COMPUTE_PGM_RSRC2:TGID_Y_EN: 1
; COMPUTE_PGM_RSRC2:TGID_Z_EN: 0
; COMPUTE_PGM_RSRC2:TIDIG_COMP_CNT: 2
; COMPUTE_PGM_RSRC3_GFX90A:ACCUM_OFFSET: 8
; COMPUTE_PGM_RSRC3_GFX90A:TG_SPLIT: 0
	.section	.text._Z15sort_key_kernelILj255ELj1ELb0ELb0EhEvPT3_jj,"axG",@progbits,_Z15sort_key_kernelILj255ELj1ELb0ELb0EhEvPT3_jj,comdat
	.protected	_Z15sort_key_kernelILj255ELj1ELb0ELb0EhEvPT3_jj ; -- Begin function _Z15sort_key_kernelILj255ELj1ELb0ELb0EhEvPT3_jj
	.globl	_Z15sort_key_kernelILj255ELj1ELb0ELb0EhEvPT3_jj
	.p2align	8
	.type	_Z15sort_key_kernelILj255ELj1ELb0ELb0EhEvPT3_jj,@function
_Z15sort_key_kernelILj255ELj1ELb0ELb0EhEvPT3_jj: ; @_Z15sort_key_kernelILj255ELj1ELb0ELb0EhEvPT3_jj
; %bb.0:
	s_load_dwordx4 s[24:27], s[4:5], 0x0
	s_mulk_i32 s6, 0xff
	v_lshlrev_b32_e32 v13, 5, v0
	v_mbcnt_lo_u32_b32 v15, -1, 0
	v_lshlrev_b32_e32 v16, 2, v0
	s_waitcnt lgkmcnt(0)
	s_add_u32 s28, s24, s6
	s_addc_u32 s29, s25, 0
	global_load_ubyte v14, v0, s[28:29]
	s_cmp_lg_u32 s26, 0
	s_cselect_b64 s[0:1], -1, 0
	s_cmp_lg_u32 s27, 8
	s_cselect_b64 s[2:3], -1, 0
	s_or_b64 s[0:1], s[0:1], s[2:3]
	v_mov_b32_e32 v11, s29
	s_and_b64 vcc, exec, s[0:1]
	v_cmp_gt_u32_e64 s[0:1], 4, v0
	v_cmp_lt_u32_e64 s[2:3], 63, v0
	s_cbranch_vccz .LBB15_19
; %bb.1:
	v_mbcnt_hi_u32_b32 v1, -1, v15
	v_and_b32_e32 v2, 15, v1
	v_cmp_eq_u32_e64 s[4:5], 0, v2
	v_cmp_lt_u32_e64 s[6:7], 1, v2
	v_cmp_lt_u32_e64 s[8:9], 3, v2
	;; [unrolled: 1-line block ×3, first 2 shown]
	v_and_b32_e32 v2, 16, v1
	v_cmp_eq_u32_e64 s[12:13], 0, v2
	v_and_b32_e32 v2, 0xc0, v0
	v_min_u32_e32 v2, 0xbf, v2
	v_add_u32_e32 v2, 63, v2
	v_cmp_eq_u32_e64 s[16:17], v2, v0
	v_add_u32_e32 v2, -1, v1
	v_and_b32_e32 v3, 64, v1
	v_cmp_lt_i32_e32 vcc, v2, v3
	v_cmp_lt_u32_e64 s[14:15], 31, v1
	v_cndmask_b32_e32 v2, v2, v1, vcc
	v_cmp_eq_u32_e64 s[18:19], 0, v1
	v_and_b32_e32 v1, 3, v1
	v_cmp_eq_u32_e64 s[20:21], 0, v1
	v_cmp_lt_u32_e64 s[22:23], 1, v1
	v_sub_u32_e32 v1, 0x6f8, v0
	s_mov_b32 s24, 0x1010102
	v_lshlrev_b32_e32 v12, 2, v2
	v_lshrrev_b32_e32 v2, 4, v0
	v_mul_hi_u32 v1, v1, s24
	v_and_b32_e32 v17, 12, v2
	v_add_u32_e32 v2, 3, v1
	v_add_u32_e32 v10, 1, v1
	v_lshlrev_b32_e32 v18, 2, v0
	v_and_b32_e32 v19, 30, v2
	v_mov_b32_e32 v1, v10
	v_mov_b32_e32 v20, 0
	s_waitcnt vmcnt(0)
	v_mov_b32_e32 v3, v14
	s_branch .LBB15_3
.LBB15_2:                               ;   in Loop: Header=BB15_3 Depth=1
	v_add_u32_sdwa v3, v2, v22 dst_sel:DWORD dst_unused:UNUSED_PAD src0_sel:DWORD src1_sel:WORD_0
	s_barrier
	ds_write_b8 v3, v21
	s_waitcnt lgkmcnt(0)
	s_barrier
	ds_read_u8 v3, v0
	s_waitcnt lgkmcnt(0)
	s_barrier
	s_cbranch_execz .LBB15_17
.LBB15_3:                               ; =>This Loop Header: Depth=1
                                        ;     Child Loop BB15_5 Depth 2
	v_mov_b32_e32 v21, v3
	s_mov_b32 s29, 0
	s_mov_b64 s[30:31], 0
	v_mov_b32_e32 v2, v18
	s_branch .LBB15_5
.LBB15_4:                               ;   in Loop: Header=BB15_5 Depth=2
	s_or_b64 exec, exec, s[24:25]
	s_add_i32 s29, s29, 2
	v_cmp_eq_u32_e32 vcc, s29, v19
	s_or_b64 s[30:31], vcc, s[30:31]
	v_add_u32_e32 v2, 0x7f8, v2
	s_andn2_b64 exec, exec, s[30:31]
	s_cbranch_execz .LBB15_9
.LBB15_5:                               ;   Parent Loop BB15_3 Depth=1
                                        ; =>  This Inner Loop Header: Depth=2
	s_or_b32 s24, s29, 1
	v_cmp_le_u32_e32 vcc, s24, v1
	v_cmp_le_u32_e64 s[24:25], s29, v10
	s_and_saveexec_b64 s[34:35], s[24:25]
	s_cbranch_execz .LBB15_7
; %bb.6:                                ;   in Loop: Header=BB15_5 Depth=2
	ds_write_b32 v2, v20
.LBB15_7:                               ;   in Loop: Header=BB15_5 Depth=2
	s_or_b64 exec, exec, s[34:35]
	s_and_saveexec_b64 s[24:25], vcc
	s_cbranch_execz .LBB15_4
; %bb.8:                                ;   in Loop: Header=BB15_5 Depth=2
	ds_write_b32 v2, v20 offset:1020
	s_branch .LBB15_4
.LBB15_9:                               ;   in Loop: Header=BB15_3 Depth=1
	s_or_b64 exec, exec, s[30:31]
	s_sub_i32 s24, s27, s26
	s_min_u32 s24, s24, 4
	v_lshrrev_b32_sdwa v2, s26, v21 dst_sel:DWORD dst_unused:UNUSED_PAD src0_sel:DWORD src1_sel:BYTE_0
	v_bfe_u32 v2, v2, 0, s24
	v_and_b32_e32 v3, 7, v2
	v_mul_u32_u24_e32 v3, 0xff, v3
	v_lshrrev_b32_e32 v2, 3, v2
	v_add_lshl_u32 v3, v3, v0, 1
	v_add_lshl_u32 v23, v3, v2, 1
	ds_read_u16 v22, v23
	s_waitcnt lgkmcnt(0)
	v_add_u16_e32 v2, 1, v22
	ds_write_b16 v23, v2
	s_waitcnt lgkmcnt(0)
	s_barrier
	ds_read2_b64 v[6:9], v13 offset1:1
	ds_read2_b64 v[2:5], v13 offset0:2 offset1:3
	s_waitcnt lgkmcnt(1)
	v_add_u32_e32 v24, v7, v6
	v_add3_u32 v24, v24, v8, v9
	s_waitcnt lgkmcnt(0)
	v_add3_u32 v24, v24, v2, v3
	v_add3_u32 v5, v24, v4, v5
	s_nop 1
	v_mov_b32_dpp v24, v5 row_shr:1 row_mask:0xf bank_mask:0xf
	v_cndmask_b32_e64 v24, v24, 0, s[4:5]
	v_add_u32_e32 v5, v24, v5
	s_nop 1
	v_mov_b32_dpp v24, v5 row_shr:2 row_mask:0xf bank_mask:0xf
	v_cndmask_b32_e64 v24, 0, v24, s[6:7]
	v_add_u32_e32 v5, v5, v24
	s_nop 1
	v_mov_b32_dpp v24, v5 row_shr:4 row_mask:0xf bank_mask:0xf
	v_cndmask_b32_e64 v24, 0, v24, s[8:9]
	v_add_u32_e32 v5, v5, v24
	s_nop 1
	v_mov_b32_dpp v24, v5 row_shr:8 row_mask:0xf bank_mask:0xf
	v_cndmask_b32_e64 v24, 0, v24, s[10:11]
	v_add_u32_e32 v5, v5, v24
	s_nop 1
	v_mov_b32_dpp v24, v5 row_bcast:15 row_mask:0xf bank_mask:0xf
	v_cndmask_b32_e64 v24, v24, 0, s[12:13]
	v_add_u32_e32 v5, v5, v24
	s_nop 1
	v_mov_b32_dpp v24, v5 row_bcast:31 row_mask:0xf bank_mask:0xf
	v_cndmask_b32_e64 v24, 0, v24, s[14:15]
	v_add_u32_e32 v5, v5, v24
	s_and_saveexec_b64 s[24:25], s[16:17]
	s_cbranch_execz .LBB15_11
; %bb.10:                               ;   in Loop: Header=BB15_3 Depth=1
	ds_write_b32 v17, v5 offset:8160
.LBB15_11:                              ;   in Loop: Header=BB15_3 Depth=1
	s_or_b64 exec, exec, s[24:25]
	s_waitcnt lgkmcnt(0)
	s_barrier
	s_and_saveexec_b64 s[24:25], s[0:1]
	s_cbranch_execz .LBB15_13
; %bb.12:                               ;   in Loop: Header=BB15_3 Depth=1
	ds_read_b32 v24, v18 offset:8160
	s_waitcnt lgkmcnt(0)
	s_nop 0
	v_mov_b32_dpp v25, v24 row_shr:1 row_mask:0xf bank_mask:0xf
	v_cndmask_b32_e64 v25, v25, 0, s[20:21]
	v_add_u32_e32 v24, v25, v24
	s_nop 1
	v_mov_b32_dpp v25, v24 row_shr:2 row_mask:0xf bank_mask:0xf
	v_cndmask_b32_e64 v25, 0, v25, s[22:23]
	v_add_u32_e32 v24, v24, v25
	ds_write_b32 v18, v24 offset:8160
.LBB15_13:                              ;   in Loop: Header=BB15_3 Depth=1
	s_or_b64 exec, exec, s[24:25]
	v_mov_b32_e32 v24, 0
	s_waitcnt lgkmcnt(0)
	s_barrier
	s_and_saveexec_b64 s[24:25], s[2:3]
	s_cbranch_execz .LBB15_15
; %bb.14:                               ;   in Loop: Header=BB15_3 Depth=1
	ds_read_b32 v24, v17 offset:8156
.LBB15_15:                              ;   in Loop: Header=BB15_3 Depth=1
	s_or_b64 exec, exec, s[24:25]
	s_waitcnt lgkmcnt(0)
	v_add_u32_e32 v5, v24, v5
	ds_bpermute_b32 v5, v12, v5
	ds_read_b32 v25, v20 offset:8172
	s_add_i32 s26, s26, 4
	s_cmp_ge_u32 s26, s27
	s_waitcnt lgkmcnt(1)
	v_cndmask_b32_e64 v5, v5, v24, s[18:19]
	s_waitcnt lgkmcnt(0)
	v_lshl_add_u32 v24, v25, 16, v5
	v_add_u32_e32 v25, v24, v6
	v_add_u32_e32 v6, v25, v7
	v_add_u32_e32 v7, v6, v8
	v_add_u32_e32 v8, v7, v9
	v_add_u32_e32 v9, v8, v2
	v_add_u32_e32 v2, v9, v3
	v_add_u32_e32 v3, v2, v4
	ds_write2_b64 v13, v[24:25], v[6:7] offset1:1
	ds_write2_b64 v13, v[8:9], v[2:3] offset0:2 offset1:3
	s_waitcnt lgkmcnt(0)
	s_barrier
	ds_read_u16 v2, v23
	s_waitcnt lgkmcnt(0)
	s_cbranch_scc0 .LBB15_2
; %bb.16:
                                        ; implicit-def: $vgpr3
.LBB15_17:
	v_add_u32_sdwa v1, v2, v22 dst_sel:DWORD dst_unused:UNUSED_PAD src0_sel:DWORD src1_sel:WORD_0
	s_barrier
	ds_write_b8 v1, v21
	s_waitcnt lgkmcnt(0)
	s_barrier
	v_add_co_u32_e32 v10, vcc, s28, v0
	v_addc_co_u32_e32 v11, vcc, 0, v11, vcc
.LBB15_18:
	ds_read_u8 v0, v0
	s_waitcnt lgkmcnt(0)
	global_store_byte v[10:11], v0, off
	s_endpgm
.LBB15_19:
	v_add_co_u32_e32 v10, vcc, s28, v0
	v_addc_co_u32_e32 v11, vcc, 0, v11, vcc
	s_cbranch_execz .LBB15_18
; %bb.20:
	v_sub_u32_e32 v1, 0x6f8, v0
	s_mov_b32 s0, 0x1010102
	v_mul_hi_u32 v1, v1, s0
	v_add_u32_e32 v2, 3, v1
	v_add_u32_e32 v12, 1, v1
	v_and_b32_e32 v17, 30, v2
	v_mov_b32_e32 v1, v12
	s_mov_b32 s6, 0
	s_mov_b64 s[2:3], 0
	v_mov_b32_e32 v2, 0
	s_branch .LBB15_22
.LBB15_21:                              ;   in Loop: Header=BB15_22 Depth=1
	s_or_b64 exec, exec, s[0:1]
	s_add_i32 s6, s6, 2
	v_cmp_eq_u32_e32 vcc, s6, v17
	s_or_b64 s[2:3], vcc, s[2:3]
	v_add_u32_e32 v16, 0x7f8, v16
	s_andn2_b64 exec, exec, s[2:3]
	s_cbranch_execz .LBB15_26
.LBB15_22:                              ; =>This Inner Loop Header: Depth=1
	s_or_b32 s0, s6, 1
	v_cmp_le_u32_e32 vcc, s0, v1
	v_cmp_le_u32_e64 s[0:1], s6, v12
	s_and_saveexec_b64 s[4:5], s[0:1]
	s_cbranch_execz .LBB15_24
; %bb.23:                               ;   in Loop: Header=BB15_22 Depth=1
	ds_write_b32 v16, v2
.LBB15_24:                              ;   in Loop: Header=BB15_22 Depth=1
	s_or_b64 exec, exec, s[4:5]
	s_and_saveexec_b64 s[0:1], vcc
	s_cbranch_execz .LBB15_21
; %bb.25:                               ;   in Loop: Header=BB15_22 Depth=1
	ds_write_b32 v16, v2 offset:1020
	s_branch .LBB15_21
.LBB15_26:
	s_or_b64 exec, exec, s[2:3]
	s_waitcnt vmcnt(0)
	v_lshrrev_b16_e32 v3, 2, v14
	v_and_b32_e32 v4, 7, v14
	s_movk_i32 s0, 0xff
	v_mad_u32_u24 v4, v4, s0, v0
	v_and_b32_e32 v3, 2, v3
	v_lshl_or_b32 v21, v4, 2, v3
	ds_read_u16 v20, v21
	v_mbcnt_hi_u32_b32 v22, -1, v15
	v_and_b32_e32 v2, 16, v22
	v_and_b32_e32 v3, 0xc0, v0
	v_cmp_eq_u32_e32 vcc, 0, v2
	s_waitcnt lgkmcnt(0)
	v_add_u16_e32 v2, 1, v20
	v_min_u32_e32 v3, 0xbf, v3
	ds_write_b16 v21, v2
	s_waitcnt lgkmcnt(0)
	s_barrier
	ds_read2_b64 v[6:9], v13 offset1:1
	v_add_u32_e32 v3, 63, v3
	v_cmp_eq_u32_e64 s[0:1], v3, v0
	ds_read2_b64 v[2:5], v13 offset0:2 offset1:3
	v_and_b32_e32 v19, 15, v22
	s_waitcnt lgkmcnt(1)
	v_add_u32_e32 v24, v7, v6
	v_add3_u32 v24, v24, v8, v9
	v_cmp_eq_u32_e64 s[6:7], 0, v19
	s_waitcnt lgkmcnt(0)
	v_add3_u32 v24, v24, v2, v3
	v_add3_u32 v5, v24, v4, v5
	v_cmp_lt_u32_e64 s[8:9], 1, v19
	v_cmp_lt_u32_e64 s[10:11], 3, v19
	v_mov_b32_dpp v24, v5 row_shr:1 row_mask:0xf bank_mask:0xf
	v_cndmask_b32_e64 v24, v24, 0, s[6:7]
	v_add_u32_e32 v5, v24, v5
	v_cmp_lt_u32_e64 s[14:15], 7, v19
	v_bfe_i32 v23, v22, 4, 1
	v_mov_b32_dpp v24, v5 row_shr:2 row_mask:0xf bank_mask:0xf
	v_cndmask_b32_e64 v24, 0, v24, s[8:9]
	v_add_u32_e32 v5, v5, v24
	v_cmp_lt_u32_e64 s[16:17], 31, v22
	v_lshrrev_b32_e32 v18, 6, v0
	v_mov_b32_dpp v24, v5 row_shr:4 row_mask:0xf bank_mask:0xf
	v_cndmask_b32_e64 v24, 0, v24, s[10:11]
	v_add_u32_e32 v5, v5, v24
	v_lshlrev_b32_e32 v15, 2, v18
	v_mul_i32_i24_e32 v16, 0xffffffe4, v0
	v_mov_b32_dpp v24, v5 row_shr:8 row_mask:0xf bank_mask:0xf
	v_cndmask_b32_e64 v19, 0, v24, s[14:15]
	v_add_u32_e32 v5, v5, v19
	s_nop 1
	v_mov_b32_dpp v19, v5 row_bcast:15 row_mask:0xf bank_mask:0xf
	v_and_b32_e32 v19, v23, v19
	v_add_u32_e32 v5, v5, v19
	s_nop 1
	v_mov_b32_dpp v19, v5 row_bcast:31 row_mask:0xf bank_mask:0xf
	v_cndmask_b32_e64 v19, 0, v19, s[16:17]
	v_add_u32_e32 v23, v5, v19
	s_and_saveexec_b64 s[2:3], s[0:1]
	s_cbranch_execz .LBB15_28
; %bb.27:
	ds_write_b32 v15, v23 offset:8160
.LBB15_28:
	s_or_b64 exec, exec, s[2:3]
	v_and_b32_e32 v5, 3, v22
	v_cmp_gt_u32_e64 s[12:13], 4, v0
	v_cmp_eq_u32_e64 s[4:5], 0, v5
	v_add_u32_e32 v16, v13, v16
	v_cmp_lt_u32_e64 s[2:3], 1, v5
	s_waitcnt lgkmcnt(0)
	s_barrier
	s_and_saveexec_b64 s[18:19], s[12:13]
	s_cbranch_execz .LBB15_30
; %bb.29:
	ds_read_b32 v5, v16 offset:8160
	s_waitcnt lgkmcnt(0)
	s_nop 0
	v_mov_b32_dpp v19, v5 row_shr:1 row_mask:0xf bank_mask:0xf
	v_cndmask_b32_e64 v19, v19, 0, s[4:5]
	v_add_u32_e32 v5, v19, v5
	s_nop 1
	v_mov_b32_dpp v19, v5 row_shr:2 row_mask:0xf bank_mask:0xf
	v_cndmask_b32_e64 v19, 0, v19, s[2:3]
	v_add_u32_e32 v5, v5, v19
	ds_write_b32 v16, v5 offset:8160
.LBB15_30:
	s_or_b64 exec, exec, s[18:19]
	v_mov_b32_e32 v5, 0x1fdc
	v_lshl_add_u32 v18, v18, 2, v5
	v_cmp_lt_u32_e64 s[18:19], 63, v0
	v_mov_b32_e32 v5, 0
	v_mov_b32_e32 v24, 0
	s_waitcnt lgkmcnt(0)
	s_barrier
	s_and_saveexec_b64 s[20:21], s[18:19]
	s_cbranch_execz .LBB15_32
; %bb.31:
	ds_read_b32 v24, v18
.LBB15_32:
	s_or_b64 exec, exec, s[20:21]
	v_add_u32_e32 v19, -1, v22
	v_and_b32_e32 v25, 64, v22
	v_cmp_lt_i32_e64 s[20:21], v19, v25
	v_cndmask_b32_e64 v19, v19, v22, s[20:21]
	v_lshlrev_b32_e32 v19, 2, v19
	s_waitcnt lgkmcnt(0)
	v_add_u32_e32 v23, v24, v23
	ds_bpermute_b32 v23, v19, v23
	ds_read_b32 v25, v5 offset:8172
	v_cmp_eq_u32_e64 s[20:21], 0, v22
	s_mov_b32 s30, 0
	s_mov_b64 s[26:27], 0
	s_waitcnt lgkmcnt(1)
	v_cndmask_b32_e64 v22, v23, v24, s[20:21]
	s_waitcnt lgkmcnt(0)
	v_lshl_add_u32 v22, v25, 16, v22
	v_add_u32_e32 v23, v22, v6
	v_add_u32_e32 v6, v23, v7
	;; [unrolled: 1-line block ×7, first 2 shown]
	ds_write2_b64 v13, v[22:23], v[6:7] offset1:1
	ds_write2_b64 v13, v[8:9], v[2:3] offset0:2 offset1:3
	s_waitcnt lgkmcnt(0)
	s_barrier
	ds_read_u16 v2, v21
	s_waitcnt lgkmcnt(0)
	s_barrier
	v_add_u32_sdwa v2, v2, v20 dst_sel:DWORD dst_unused:UNUSED_PAD src0_sel:DWORD src1_sel:WORD_0
	ds_write_b8 v2, v14
	s_waitcnt lgkmcnt(0)
	s_barrier
	ds_read_u8 v14, v0
	v_mov_b32_e32 v2, v16
	s_waitcnt lgkmcnt(0)
	s_barrier
	s_branch .LBB15_34
.LBB15_33:                              ;   in Loop: Header=BB15_34 Depth=1
	s_or_b64 exec, exec, s[24:25]
	s_add_i32 s30, s30, 2
	v_cmp_eq_u32_e64 s[22:23], s30, v17
	s_or_b64 s[26:27], s[22:23], s[26:27]
	v_add_u32_e32 v2, 0x7f8, v2
	s_andn2_b64 exec, exec, s[26:27]
	s_cbranch_execz .LBB15_38
.LBB15_34:                              ; =>This Inner Loop Header: Depth=1
	s_or_b32 s22, s30, 1
	v_cmp_le_u32_e64 s[22:23], s22, v1
	v_cmp_le_u32_e64 s[24:25], s30, v12
	s_and_saveexec_b64 s[28:29], s[24:25]
	s_cbranch_execz .LBB15_36
; %bb.35:                               ;   in Loop: Header=BB15_34 Depth=1
	ds_write_b32 v2, v5
.LBB15_36:                              ;   in Loop: Header=BB15_34 Depth=1
	s_or_b64 exec, exec, s[28:29]
	s_and_saveexec_b64 s[24:25], s[22:23]
	s_cbranch_execz .LBB15_33
; %bb.37:                               ;   in Loop: Header=BB15_34 Depth=1
	ds_write_b32 v2, v5 offset:1020
	s_branch .LBB15_33
.LBB15_38:
	s_or_b64 exec, exec, s[26:27]
	v_lshrrev_b16_e32 v1, 4, v14
	v_and_b32_e32 v1, 15, v1
	v_mov_b32_e32 v2, 7
	v_mov_b32_e32 v3, 2
	v_and_b32_sdwa v2, v1, v2 dst_sel:DWORD dst_unused:UNUSED_PAD src0_sel:WORD_0 src1_sel:DWORD
	s_movk_i32 s22, 0xff
	v_lshrrev_b32_sdwa v1, v3, v1 dst_sel:DWORD dst_unused:UNUSED_PAD src0_sel:DWORD src1_sel:WORD_0
	v_mad_u32_u24 v2, v2, s22, v0
	v_and_b32_e32 v1, 2, v1
	v_lshl_or_b32 v12, v2, 2, v1
	ds_read_u16 v1, v12
	s_waitcnt lgkmcnt(0)
	v_add_u16_e32 v2, 1, v1
	ds_write_b16 v12, v2
	s_waitcnt lgkmcnt(0)
	s_barrier
	ds_read2_b64 v[6:9], v13 offset1:1
	ds_read2_b64 v[2:5], v13 offset0:2 offset1:3
	s_waitcnt lgkmcnt(1)
	v_add_u32_e32 v17, v7, v6
	v_add3_u32 v17, v17, v8, v9
	s_waitcnt lgkmcnt(0)
	v_add3_u32 v17, v17, v2, v3
	v_add3_u32 v5, v17, v4, v5
	s_nop 1
	v_mov_b32_dpp v17, v5 row_shr:1 row_mask:0xf bank_mask:0xf
	v_cndmask_b32_e64 v17, v17, 0, s[6:7]
	v_add_u32_e32 v5, v17, v5
	s_nop 1
	v_mov_b32_dpp v17, v5 row_shr:2 row_mask:0xf bank_mask:0xf
	v_cndmask_b32_e64 v17, 0, v17, s[8:9]
	v_add_u32_e32 v5, v5, v17
	;; [unrolled: 4-line block ×4, first 2 shown]
	s_nop 1
	v_mov_b32_dpp v17, v5 row_bcast:15 row_mask:0xf bank_mask:0xf
	v_cndmask_b32_e64 v17, v17, 0, vcc
	v_add_u32_e32 v5, v5, v17
	s_nop 1
	v_mov_b32_dpp v17, v5 row_bcast:31 row_mask:0xf bank_mask:0xf
	v_cndmask_b32_e64 v17, 0, v17, s[16:17]
	v_add_u32_e32 v5, v5, v17
	s_and_saveexec_b64 s[6:7], s[0:1]
	s_cbranch_execz .LBB15_40
; %bb.39:
	ds_write_b32 v15, v5 offset:8160
.LBB15_40:
	s_or_b64 exec, exec, s[6:7]
	s_waitcnt lgkmcnt(0)
	s_barrier
	s_and_saveexec_b64 s[0:1], s[12:13]
	s_cbranch_execz .LBB15_42
; %bb.41:
	ds_read_b32 v15, v16 offset:8160
	s_waitcnt lgkmcnt(0)
	s_nop 0
	v_mov_b32_dpp v17, v15 row_shr:1 row_mask:0xf bank_mask:0xf
	v_cndmask_b32_e64 v17, v17, 0, s[4:5]
	v_add_u32_e32 v15, v17, v15
	s_nop 1
	v_mov_b32_dpp v17, v15 row_shr:2 row_mask:0xf bank_mask:0xf
	v_cndmask_b32_e64 v17, 0, v17, s[2:3]
	v_add_u32_e32 v15, v15, v17
	ds_write_b32 v16, v15 offset:8160
.LBB15_42:
	s_or_b64 exec, exec, s[0:1]
	v_mov_b32_e32 v15, 0
	v_mov_b32_e32 v16, 0
	s_waitcnt lgkmcnt(0)
	s_barrier
	s_and_saveexec_b64 s[0:1], s[18:19]
	s_cbranch_execz .LBB15_44
; %bb.43:
	ds_read_b32 v16, v18
.LBB15_44:
	s_or_b64 exec, exec, s[0:1]
	s_waitcnt lgkmcnt(0)
	v_add_u32_e32 v5, v16, v5
	ds_bpermute_b32 v5, v19, v5
	ds_read_b32 v15, v15 offset:8172
	s_waitcnt lgkmcnt(1)
	v_cndmask_b32_e64 v5, v5, v16, s[20:21]
	s_waitcnt lgkmcnt(0)
	v_lshl_add_u32 v16, v15, 16, v5
	v_add_u32_e32 v17, v16, v6
	v_add_u32_e32 v6, v17, v7
	;; [unrolled: 1-line block ×7, first 2 shown]
	ds_write2_b64 v13, v[16:17], v[6:7] offset1:1
	ds_write2_b64 v13, v[8:9], v[2:3] offset0:2 offset1:3
	s_waitcnt lgkmcnt(0)
	s_barrier
	ds_read_u16 v2, v12
	s_waitcnt lgkmcnt(0)
	s_barrier
	v_add_u32_sdwa v1, v2, v1 dst_sel:DWORD dst_unused:UNUSED_PAD src0_sel:DWORD src1_sel:WORD_0
	ds_write_b8 v1, v14
	s_waitcnt lgkmcnt(0)
	s_barrier
	ds_read_u8 v0, v0
	s_waitcnt lgkmcnt(0)
	global_store_byte v[10:11], v0, off
	s_endpgm
	.section	.rodata,"a",@progbits
	.p2align	6, 0x0
	.amdhsa_kernel _Z15sort_key_kernelILj255ELj1ELb0ELb0EhEvPT3_jj
		.amdhsa_group_segment_fixed_size 8176
		.amdhsa_private_segment_fixed_size 0
		.amdhsa_kernarg_size 16
		.amdhsa_user_sgpr_count 6
		.amdhsa_user_sgpr_private_segment_buffer 1
		.amdhsa_user_sgpr_dispatch_ptr 0
		.amdhsa_user_sgpr_queue_ptr 0
		.amdhsa_user_sgpr_kernarg_segment_ptr 1
		.amdhsa_user_sgpr_dispatch_id 0
		.amdhsa_user_sgpr_flat_scratch_init 0
		.amdhsa_user_sgpr_kernarg_preload_length 0
		.amdhsa_user_sgpr_kernarg_preload_offset 0
		.amdhsa_user_sgpr_private_segment_size 0
		.amdhsa_uses_dynamic_stack 0
		.amdhsa_system_sgpr_private_segment_wavefront_offset 0
		.amdhsa_system_sgpr_workgroup_id_x 1
		.amdhsa_system_sgpr_workgroup_id_y 0
		.amdhsa_system_sgpr_workgroup_id_z 0
		.amdhsa_system_sgpr_workgroup_info 0
		.amdhsa_system_vgpr_workitem_id 0
		.amdhsa_next_free_vgpr 26
		.amdhsa_next_free_sgpr 36
		.amdhsa_accum_offset 28
		.amdhsa_reserve_vcc 1
		.amdhsa_reserve_flat_scratch 0
		.amdhsa_float_round_mode_32 0
		.amdhsa_float_round_mode_16_64 0
		.amdhsa_float_denorm_mode_32 3
		.amdhsa_float_denorm_mode_16_64 3
		.amdhsa_dx10_clamp 1
		.amdhsa_ieee_mode 1
		.amdhsa_fp16_overflow 0
		.amdhsa_tg_split 0
		.amdhsa_exception_fp_ieee_invalid_op 0
		.amdhsa_exception_fp_denorm_src 0
		.amdhsa_exception_fp_ieee_div_zero 0
		.amdhsa_exception_fp_ieee_overflow 0
		.amdhsa_exception_fp_ieee_underflow 0
		.amdhsa_exception_fp_ieee_inexact 0
		.amdhsa_exception_int_div_zero 0
	.end_amdhsa_kernel
	.section	.text._Z15sort_key_kernelILj255ELj1ELb0ELb0EhEvPT3_jj,"axG",@progbits,_Z15sort_key_kernelILj255ELj1ELb0ELb0EhEvPT3_jj,comdat
.Lfunc_end15:
	.size	_Z15sort_key_kernelILj255ELj1ELb0ELb0EhEvPT3_jj, .Lfunc_end15-_Z15sort_key_kernelILj255ELj1ELb0ELb0EhEvPT3_jj
                                        ; -- End function
	.section	.AMDGPU.csdata,"",@progbits
; Kernel info:
; codeLenInByte = 2688
; NumSgprs: 40
; NumVgprs: 26
; NumAgprs: 0
; TotalNumVgprs: 26
; ScratchSize: 0
; MemoryBound: 0
; FloatMode: 240
; IeeeMode: 1
; LDSByteSize: 8176 bytes/workgroup (compile time only)
; SGPRBlocks: 4
; VGPRBlocks: 3
; NumSGPRsForWavesPerEU: 40
; NumVGPRsForWavesPerEU: 26
; AccumOffset: 28
; Occupancy: 8
; WaveLimiterHint : 0
; COMPUTE_PGM_RSRC2:SCRATCH_EN: 0
; COMPUTE_PGM_RSRC2:USER_SGPR: 6
; COMPUTE_PGM_RSRC2:TRAP_HANDLER: 0
; COMPUTE_PGM_RSRC2:TGID_X_EN: 1
; COMPUTE_PGM_RSRC2:TGID_Y_EN: 0
; COMPUTE_PGM_RSRC2:TGID_Z_EN: 0
; COMPUTE_PGM_RSRC2:TIDIG_COMP_CNT: 0
; COMPUTE_PGM_RSRC3_GFX90A:ACCUM_OFFSET: 6
; COMPUTE_PGM_RSRC3_GFX90A:TG_SPLIT: 0
	.section	.text._Z15sort_key_kernelILj162ELj1ELb1ELb0EjEvPT3_jj,"axG",@progbits,_Z15sort_key_kernelILj162ELj1ELb1ELb0EjEvPT3_jj,comdat
	.protected	_Z15sort_key_kernelILj162ELj1ELb1ELb0EjEvPT3_jj ; -- Begin function _Z15sort_key_kernelILj162ELj1ELb1ELb0EjEvPT3_jj
	.globl	_Z15sort_key_kernelILj162ELj1ELb1ELb0EjEvPT3_jj
	.p2align	8
	.type	_Z15sort_key_kernelILj162ELj1ELb1ELb0EjEvPT3_jj,@function
_Z15sort_key_kernelILj162ELj1ELb1ELb0EjEvPT3_jj: ; @_Z15sort_key_kernelILj162ELj1ELb1ELb0EjEvPT3_jj
; %bb.0:
	s_load_dwordx4 s[24:27], s[4:5], 0x0
	s_mul_i32 s0, s6, 0xa2
	s_mov_b32 s1, 0
	s_lshl_b64 s[0:1], s[0:1], 2
	v_lshlrev_b32_e32 v1, 2, v0
	s_waitcnt lgkmcnt(0)
	s_add_u32 s0, s24, s0
	s_addc_u32 s1, s25, s1
	global_load_dword v18, v1, s[0:1]
	v_add_co_u32_e32 v10, vcc, s0, v1
	v_mbcnt_lo_u32_b32 v1, -1, 0
	v_mov_b32_e32 v2, s1
	v_mbcnt_hi_u32_b32 v1, -1, v1
	v_addc_co_u32_e32 v11, vcc, 0, v2, vcc
	v_and_b32_e32 v2, 15, v1
	v_cmp_eq_u32_e64 s[22:23], 0, v2
	v_cmp_lt_u32_e64 s[20:21], 1, v2
	v_cmp_lt_u32_e64 s[18:19], 3, v2
	;; [unrolled: 1-line block ×3, first 2 shown]
	v_and_b32_e32 v2, 16, v1
	v_cmp_eq_u32_e64 s[14:15], 0, v2
	v_and_b32_e32 v2, 0xc0, v0
	v_min_u32_e32 v2, 0x62, v2
	s_cmp_eq_u32 s26, 0
	v_add_u32_e32 v2, 63, v2
	s_cselect_b64 s[0:1], -1, 0
	s_cmp_eq_u32 s27, 32
	v_cmp_eq_u32_e64 s[12:13], v2, v0
	v_add_u32_e32 v2, -1, v1
	v_and_b32_e32 v3, 64, v1
	s_cselect_b64 s[2:3], -1, 0
	v_cmp_lt_i32_e32 vcc, v2, v3
	s_and_b64 s[28:29], s[0:1], s[2:3]
	v_lshlrev_b32_e32 v13, 5, v0
	v_cmp_lt_u32_e64 s[10:11], 31, v1
	v_cndmask_b32_e32 v2, v2, v1, vcc
	v_cmp_eq_u32_e64 s[0:1], 0, v1
	s_movk_i32 s6, 0xffe4
	v_and_b32_e32 v1, 3, v1
	v_mad_i32_i24 v14, v0, s6, v13
	v_cmp_eq_u32_e64 s[8:9], 0, v1
	v_cmp_lt_u32_e64 s[6:7], 1, v1
	v_sub_u32_e32 v1, 0x46d, v0
	s_mov_b32 s24, 0x1948b10
	v_lshlrev_b32_e32 v15, 2, v2
	v_lshrrev_b32_e32 v2, 4, v0
	v_mul_hi_u32 v1, v1, s24
	v_cmp_gt_u32_e64 s[4:5], 3, v0
	v_cmp_lt_u32_e64 s[2:3], 63, v0
	v_and_b32_e32 v16, 12, v2
	s_mov_b64 s[24:25], -1
	s_and_b64 vcc, exec, s[28:29]
	v_add_u32_e32 v17, 3, v1
	v_add_u32_e32 v12, 1, v1
	s_cbranch_vccz .LBB16_3
; %bb.1:
	s_and_b64 vcc, exec, s[24:25]
	s_cbranch_vccnz .LBB16_20
.LBB16_2:
	ds_read_b32 v0, v14
	s_waitcnt lgkmcnt(0)
	global_store_dword v[10:11], v0, off
	s_endpgm
.LBB16_3:
	v_and_b32_e32 v19, 30, v17
	v_mov_b32_e32 v1, v12
	v_mov_b32_e32 v20, 0
	;; [unrolled: 1-line block ×3, first 2 shown]
	s_waitcnt vmcnt(0)
	v_mov_b32_e32 v3, v18
	s_branch .LBB16_5
.LBB16_4:                               ;   in Loop: Header=BB16_5 Depth=1
	s_barrier
	ds_write_b32 v2, v22
	s_waitcnt lgkmcnt(0)
	s_barrier
	ds_read_b32 v3, v14
	s_waitcnt lgkmcnt(0)
	s_barrier
	s_cbranch_execz .LBB16_19
.LBB16_5:                               ; =>This Loop Header: Depth=1
                                        ;     Child Loop BB16_7 Depth 2
	v_mov_b32_e32 v22, v3
	s_mov_b64 s[28:29], 0
	v_mov_b32_e32 v2, v14
	s_mov_b32 s33, 0
	s_branch .LBB16_7
.LBB16_6:                               ;   in Loop: Header=BB16_7 Depth=2
	s_or_b64 exec, exec, s[24:25]
	s_add_i32 s33, s33, 2
	v_cmp_eq_u32_e32 vcc, s33, v19
	s_or_b64 s[28:29], vcc, s[28:29]
	v_add_u32_e32 v2, 0x510, v2
	s_andn2_b64 exec, exec, s[28:29]
	s_cbranch_execz .LBB16_11
.LBB16_7:                               ;   Parent Loop BB16_5 Depth=1
                                        ; =>  This Inner Loop Header: Depth=2
	s_or_b32 s24, s33, 1
	v_cmp_le_u32_e32 vcc, s24, v1
	v_cmp_le_u32_e64 s[24:25], s33, v12
	s_and_saveexec_b64 s[30:31], s[24:25]
	s_cbranch_execz .LBB16_9
; %bb.8:                                ;   in Loop: Header=BB16_7 Depth=2
	ds_write_b32 v2, v20
.LBB16_9:                               ;   in Loop: Header=BB16_7 Depth=2
	s_or_b64 exec, exec, s[30:31]
	s_and_saveexec_b64 s[24:25], vcc
	s_cbranch_execz .LBB16_6
; %bb.10:                               ;   in Loop: Header=BB16_7 Depth=2
	ds_write_b32 v2, v20 offset:648
	s_branch .LBB16_6
.LBB16_11:                              ;   in Loop: Header=BB16_5 Depth=1
	s_or_b64 exec, exec, s[28:29]
	s_sub_i32 s24, s27, s26
	s_min_u32 s24, s24, 4
	v_lshrrev_b32_e32 v2, s26, v22
	v_bfe_u32 v2, v2, 0, s24
	v_and_b32_e32 v3, 7, v2
	v_mul_u32_u24_e32 v3, 0xa2, v3
	v_lshrrev_b32_e32 v2, 3, v2
	v_add_lshl_u32 v3, v3, v0, 1
	v_add_lshl_u32 v24, v3, v2, 1
	ds_read_u16 v23, v24
	s_waitcnt lgkmcnt(0)
	v_add_u16_e32 v2, 1, v23
	ds_write_b16 v24, v2
	s_waitcnt lgkmcnt(0)
	s_barrier
	ds_read2_b64 v[6:9], v13 offset1:1
	ds_read2_b64 v[2:5], v13 offset0:2 offset1:3
	s_waitcnt lgkmcnt(1)
	v_add_u32_e32 v25, v7, v6
	v_add3_u32 v25, v25, v8, v9
	s_waitcnt lgkmcnt(0)
	v_add3_u32 v25, v25, v2, v3
	v_add3_u32 v5, v25, v4, v5
	s_nop 1
	v_mov_b32_dpp v25, v5 row_shr:1 row_mask:0xf bank_mask:0xf
	v_cndmask_b32_e64 v25, v25, 0, s[22:23]
	v_add_u32_e32 v5, v25, v5
	s_nop 1
	v_mov_b32_dpp v25, v5 row_shr:2 row_mask:0xf bank_mask:0xf
	v_cndmask_b32_e64 v25, 0, v25, s[20:21]
	v_add_u32_e32 v5, v5, v25
	;; [unrolled: 4-line block ×4, first 2 shown]
	s_nop 1
	v_mov_b32_dpp v25, v5 row_bcast:15 row_mask:0xf bank_mask:0xf
	v_cndmask_b32_e64 v25, v25, 0, s[14:15]
	v_add_u32_e32 v5, v5, v25
	s_nop 1
	v_mov_b32_dpp v25, v5 row_bcast:31 row_mask:0xf bank_mask:0xf
	v_cndmask_b32_e64 v25, 0, v25, s[10:11]
	v_add_u32_e32 v5, v5, v25
	s_and_saveexec_b64 s[24:25], s[12:13]
	s_cbranch_execz .LBB16_13
; %bb.12:                               ;   in Loop: Header=BB16_5 Depth=1
	ds_write_b32 v16, v5 offset:5184
.LBB16_13:                              ;   in Loop: Header=BB16_5 Depth=1
	s_or_b64 exec, exec, s[24:25]
	s_waitcnt lgkmcnt(0)
	s_barrier
	s_and_saveexec_b64 s[24:25], s[4:5]
	s_cbranch_execz .LBB16_15
; %bb.14:                               ;   in Loop: Header=BB16_5 Depth=1
	ds_read_b32 v25, v14 offset:5184
	s_waitcnt lgkmcnt(0)
	s_nop 0
	v_mov_b32_dpp v26, v25 row_shr:1 row_mask:0xf bank_mask:0xf
	v_cndmask_b32_e64 v26, v26, 0, s[8:9]
	v_add_u32_e32 v25, v26, v25
	s_nop 1
	v_mov_b32_dpp v26, v25 row_shr:2 row_mask:0xf bank_mask:0xf
	v_cndmask_b32_e64 v26, 0, v26, s[6:7]
	v_add_u32_e32 v25, v25, v26
	ds_write_b32 v14, v25 offset:5184
.LBB16_15:                              ;   in Loop: Header=BB16_5 Depth=1
	s_or_b64 exec, exec, s[24:25]
	v_mov_b32_e32 v25, 0
	s_waitcnt lgkmcnt(0)
	s_barrier
	s_and_saveexec_b64 s[24:25], s[2:3]
	s_cbranch_execz .LBB16_17
; %bb.16:                               ;   in Loop: Header=BB16_5 Depth=1
	ds_read_b32 v25, v16 offset:5180
.LBB16_17:                              ;   in Loop: Header=BB16_5 Depth=1
	s_or_b64 exec, exec, s[24:25]
	s_waitcnt lgkmcnt(0)
	v_add_u32_e32 v5, v25, v5
	ds_bpermute_b32 v5, v15, v5
	ds_read_b32 v26, v20 offset:5192
	s_add_i32 s26, s26, 4
	s_cmp_ge_u32 s26, s27
	s_waitcnt lgkmcnt(1)
	v_cndmask_b32_e64 v5, v5, v25, s[0:1]
	s_waitcnt lgkmcnt(0)
	v_lshl_add_u32 v26, v26, 16, v5
	v_add_u32_e32 v27, v26, v6
	v_add_u32_e32 v6, v27, v7
	;; [unrolled: 1-line block ×7, first 2 shown]
	ds_write2_b64 v13, v[26:27], v[6:7] offset1:1
	ds_write2_b64 v13, v[8:9], v[2:3] offset0:2 offset1:3
	s_waitcnt lgkmcnt(0)
	s_barrier
	ds_read_u16 v2, v24
	v_lshlrev_b32_sdwa v3, v21, v23 dst_sel:DWORD dst_unused:UNUSED_PAD src0_sel:DWORD src1_sel:WORD_0
	s_waitcnt lgkmcnt(0)
	v_lshl_add_u32 v2, v2, 2, v3
	s_cbranch_scc0 .LBB16_4
; %bb.18:
                                        ; implicit-def: $vgpr3
.LBB16_19:
	s_barrier
	ds_write_b32 v2, v22
	s_waitcnt lgkmcnt(0)
	s_barrier
	s_branch .LBB16_2
.LBB16_20:
	v_and_b32_e32 v17, 30, v17
	v_mov_b32_e32 v1, v12
	s_mov_b32 s30, 0
	s_mov_b64 s[26:27], 0
	v_mov_b32_e32 v2, 0
	v_mov_b32_e32 v3, v14
	s_branch .LBB16_22
.LBB16_21:                              ;   in Loop: Header=BB16_22 Depth=1
	s_or_b64 exec, exec, s[24:25]
	s_add_i32 s30, s30, 2
	v_cmp_eq_u32_e32 vcc, s30, v17
	s_or_b64 s[26:27], vcc, s[26:27]
	v_add_u32_e32 v3, 0x510, v3
	s_andn2_b64 exec, exec, s[26:27]
	s_cbranch_execz .LBB16_26
.LBB16_22:                              ; =>This Inner Loop Header: Depth=1
	s_or_b32 s24, s30, 1
	v_cmp_le_u32_e32 vcc, s24, v1
	v_cmp_le_u32_e64 s[24:25], s30, v12
	s_and_saveexec_b64 s[28:29], s[24:25]
	s_cbranch_execz .LBB16_24
; %bb.23:                               ;   in Loop: Header=BB16_22 Depth=1
	ds_write_b32 v3, v2
.LBB16_24:                              ;   in Loop: Header=BB16_22 Depth=1
	s_or_b64 exec, exec, s[28:29]
	s_and_saveexec_b64 s[24:25], vcc
	s_cbranch_execz .LBB16_21
; %bb.25:                               ;   in Loop: Header=BB16_22 Depth=1
	ds_write_b32 v3, v2 offset:648
	s_branch .LBB16_21
.LBB16_26:
	s_or_b64 exec, exec, s[26:27]
	s_waitcnt vmcnt(0)
	v_and_b32_e32 v2, 7, v18
	s_movk_i32 s24, 0xa2
	v_lshrrev_b32_e32 v3, 2, v18
	v_mad_u32_u24 v2, v2, s24, v0
	v_and_b32_e32 v3, 2, v3
	v_lshl_or_b32 v20, v2, 2, v3
	ds_read_u16 v19, v20
	s_waitcnt lgkmcnt(0)
	v_add_u16_e32 v2, 1, v19
	ds_write_b16 v20, v2
	s_waitcnt lgkmcnt(0)
	s_barrier
	ds_read2_b64 v[6:9], v13 offset1:1
	ds_read2_b64 v[2:5], v13 offset0:2 offset1:3
	s_waitcnt lgkmcnt(1)
	v_add_u32_e32 v21, v7, v6
	v_add3_u32 v21, v21, v8, v9
	s_waitcnt lgkmcnt(0)
	v_add3_u32 v21, v21, v2, v3
	v_add3_u32 v5, v21, v4, v5
	s_nop 1
	v_mov_b32_dpp v21, v5 row_shr:1 row_mask:0xf bank_mask:0xf
	v_cndmask_b32_e64 v21, v21, 0, s[22:23]
	v_add_u32_e32 v5, v21, v5
	s_nop 1
	v_mov_b32_dpp v21, v5 row_shr:2 row_mask:0xf bank_mask:0xf
	v_cndmask_b32_e64 v21, 0, v21, s[20:21]
	v_add_u32_e32 v5, v5, v21
	;; [unrolled: 4-line block ×4, first 2 shown]
	s_nop 1
	v_mov_b32_dpp v21, v5 row_bcast:15 row_mask:0xf bank_mask:0xf
	v_cndmask_b32_e64 v21, v21, 0, s[14:15]
	v_add_u32_e32 v5, v5, v21
	s_nop 1
	v_mov_b32_dpp v21, v5 row_bcast:31 row_mask:0xf bank_mask:0xf
	v_cndmask_b32_e64 v21, 0, v21, s[10:11]
	v_add_u32_e32 v21, v5, v21
	s_and_saveexec_b64 s[24:25], s[12:13]
	s_cbranch_execz .LBB16_28
; %bb.27:
	ds_write_b32 v16, v21 offset:5184
.LBB16_28:
	s_or_b64 exec, exec, s[24:25]
	s_waitcnt lgkmcnt(0)
	s_barrier
	s_and_saveexec_b64 s[24:25], s[4:5]
	s_cbranch_execz .LBB16_30
; %bb.29:
	ds_read_b32 v5, v14 offset:5184
	s_waitcnt lgkmcnt(0)
	s_nop 0
	v_mov_b32_dpp v22, v5 row_shr:1 row_mask:0xf bank_mask:0xf
	v_cndmask_b32_e64 v22, v22, 0, s[8:9]
	v_add_u32_e32 v5, v22, v5
	s_nop 1
	v_mov_b32_dpp v22, v5 row_shr:2 row_mask:0xf bank_mask:0xf
	v_cndmask_b32_e64 v22, 0, v22, s[6:7]
	v_add_u32_e32 v5, v5, v22
	ds_write_b32 v14, v5 offset:5184
.LBB16_30:
	s_or_b64 exec, exec, s[24:25]
	v_mov_b32_e32 v5, 0
	v_mov_b32_e32 v22, 0
	s_waitcnt lgkmcnt(0)
	s_barrier
	s_and_saveexec_b64 s[24:25], s[2:3]
	s_cbranch_execz .LBB16_32
; %bb.31:
	ds_read_b32 v22, v16 offset:5180
.LBB16_32:
	s_or_b64 exec, exec, s[24:25]
	s_waitcnt lgkmcnt(0)
	v_add_u32_e32 v21, v22, v21
	ds_bpermute_b32 v21, v15, v21
	ds_read_b32 v23, v5 offset:5192
	s_mov_b32 s30, 0
	s_mov_b64 s[26:27], 0
	s_waitcnt lgkmcnt(1)
	v_cndmask_b32_e64 v21, v21, v22, s[0:1]
	s_waitcnt lgkmcnt(0)
	v_lshl_add_u32 v22, v23, 16, v21
	v_add_u32_e32 v23, v22, v6
	v_add_u32_e32 v6, v23, v7
	;; [unrolled: 1-line block ×7, first 2 shown]
	ds_write2_b64 v13, v[22:23], v[6:7] offset1:1
	ds_write2_b64 v13, v[8:9], v[2:3] offset0:2 offset1:3
	s_waitcnt lgkmcnt(0)
	s_barrier
	ds_read_u16 v2, v20
	v_mov_b32_e32 v3, 2
	v_lshlrev_b32_sdwa v3, v3, v19 dst_sel:DWORD dst_unused:UNUSED_PAD src0_sel:DWORD src1_sel:WORD_0
	s_waitcnt lgkmcnt(0)
	s_barrier
	v_lshl_add_u32 v2, v2, 2, v3
	ds_write_b32 v2, v18
	s_waitcnt lgkmcnt(0)
	s_barrier
	ds_read_b32 v18, v14
	v_mov_b32_e32 v2, v14
	s_waitcnt lgkmcnt(0)
	s_barrier
	s_branch .LBB16_34
.LBB16_33:                              ;   in Loop: Header=BB16_34 Depth=1
	s_or_b64 exec, exec, s[24:25]
	s_add_i32 s30, s30, 2
	v_cmp_eq_u32_e32 vcc, s30, v17
	s_or_b64 s[26:27], vcc, s[26:27]
	v_add_u32_e32 v2, 0x510, v2
	s_andn2_b64 exec, exec, s[26:27]
	s_cbranch_execz .LBB16_38
.LBB16_34:                              ; =>This Inner Loop Header: Depth=1
	s_or_b32 s24, s30, 1
	v_cmp_le_u32_e32 vcc, s24, v1
	v_cmp_le_u32_e64 s[24:25], s30, v12
	s_and_saveexec_b64 s[28:29], s[24:25]
	s_cbranch_execz .LBB16_36
; %bb.35:                               ;   in Loop: Header=BB16_34 Depth=1
	ds_write_b32 v2, v5
.LBB16_36:                              ;   in Loop: Header=BB16_34 Depth=1
	s_or_b64 exec, exec, s[28:29]
	s_and_saveexec_b64 s[24:25], vcc
	s_cbranch_execz .LBB16_33
; %bb.37:                               ;   in Loop: Header=BB16_34 Depth=1
	ds_write_b32 v2, v5 offset:648
	s_branch .LBB16_33
.LBB16_38:
	s_or_b64 exec, exec, s[26:27]
	v_bfe_u32 v2, v18, 4, 3
	s_movk_i32 s24, 0xa2
	v_lshrrev_b32_e32 v3, 6, v18
	v_mad_u32_u24 v2, v2, s24, v0
	v_and_b32_e32 v3, 2, v3
	v_lshl_or_b32 v20, v2, 2, v3
	ds_read_u16 v19, v20
	s_waitcnt lgkmcnt(0)
	v_add_u16_e32 v2, 1, v19
	ds_write_b16 v20, v2
	s_waitcnt lgkmcnt(0)
	s_barrier
	ds_read2_b64 v[6:9], v13 offset1:1
	ds_read2_b64 v[2:5], v13 offset0:2 offset1:3
	s_waitcnt lgkmcnt(1)
	v_add_u32_e32 v21, v7, v6
	v_add3_u32 v21, v21, v8, v9
	s_waitcnt lgkmcnt(0)
	v_add3_u32 v21, v21, v2, v3
	v_add3_u32 v5, v21, v4, v5
	s_nop 1
	v_mov_b32_dpp v21, v5 row_shr:1 row_mask:0xf bank_mask:0xf
	v_cndmask_b32_e64 v21, v21, 0, s[22:23]
	v_add_u32_e32 v5, v21, v5
	s_nop 1
	v_mov_b32_dpp v21, v5 row_shr:2 row_mask:0xf bank_mask:0xf
	v_cndmask_b32_e64 v21, 0, v21, s[20:21]
	v_add_u32_e32 v5, v5, v21
	;; [unrolled: 4-line block ×4, first 2 shown]
	s_nop 1
	v_mov_b32_dpp v21, v5 row_bcast:15 row_mask:0xf bank_mask:0xf
	v_cndmask_b32_e64 v21, v21, 0, s[14:15]
	v_add_u32_e32 v5, v5, v21
	s_nop 1
	v_mov_b32_dpp v21, v5 row_bcast:31 row_mask:0xf bank_mask:0xf
	v_cndmask_b32_e64 v21, 0, v21, s[10:11]
	v_add_u32_e32 v21, v5, v21
	s_and_saveexec_b64 s[24:25], s[12:13]
	s_cbranch_execz .LBB16_40
; %bb.39:
	ds_write_b32 v16, v21 offset:5184
.LBB16_40:
	s_or_b64 exec, exec, s[24:25]
	s_waitcnt lgkmcnt(0)
	s_barrier
	s_and_saveexec_b64 s[24:25], s[4:5]
	s_cbranch_execz .LBB16_42
; %bb.41:
	ds_read_b32 v5, v14 offset:5184
	s_waitcnt lgkmcnt(0)
	s_nop 0
	v_mov_b32_dpp v22, v5 row_shr:1 row_mask:0xf bank_mask:0xf
	v_cndmask_b32_e64 v22, v22, 0, s[8:9]
	v_add_u32_e32 v5, v22, v5
	s_nop 1
	v_mov_b32_dpp v22, v5 row_shr:2 row_mask:0xf bank_mask:0xf
	v_cndmask_b32_e64 v22, 0, v22, s[6:7]
	v_add_u32_e32 v5, v5, v22
	ds_write_b32 v14, v5 offset:5184
.LBB16_42:
	s_or_b64 exec, exec, s[24:25]
	v_mov_b32_e32 v5, 0
	v_mov_b32_e32 v22, 0
	s_waitcnt lgkmcnt(0)
	s_barrier
	s_and_saveexec_b64 s[24:25], s[2:3]
	s_cbranch_execz .LBB16_44
; %bb.43:
	ds_read_b32 v22, v16 offset:5180
.LBB16_44:
	s_or_b64 exec, exec, s[24:25]
	s_waitcnt lgkmcnt(0)
	v_add_u32_e32 v21, v22, v21
	ds_bpermute_b32 v21, v15, v21
	ds_read_b32 v23, v5 offset:5192
	s_mov_b32 s30, 0
	s_mov_b64 s[26:27], 0
	s_waitcnt lgkmcnt(1)
	v_cndmask_b32_e64 v21, v21, v22, s[0:1]
	s_waitcnt lgkmcnt(0)
	v_lshl_add_u32 v22, v23, 16, v21
	v_add_u32_e32 v23, v22, v6
	v_add_u32_e32 v6, v23, v7
	;; [unrolled: 1-line block ×7, first 2 shown]
	ds_write2_b64 v13, v[22:23], v[6:7] offset1:1
	ds_write2_b64 v13, v[8:9], v[2:3] offset0:2 offset1:3
	s_waitcnt lgkmcnt(0)
	s_barrier
	ds_read_u16 v2, v20
	v_mov_b32_e32 v3, 2
	v_lshlrev_b32_sdwa v3, v3, v19 dst_sel:DWORD dst_unused:UNUSED_PAD src0_sel:DWORD src1_sel:WORD_0
	s_waitcnt lgkmcnt(0)
	s_barrier
	v_lshl_add_u32 v2, v2, 2, v3
	ds_write_b32 v2, v18
	s_waitcnt lgkmcnt(0)
	s_barrier
	ds_read_b32 v18, v14
	v_mov_b32_e32 v2, v14
	s_waitcnt lgkmcnt(0)
	s_barrier
	s_branch .LBB16_46
.LBB16_45:                              ;   in Loop: Header=BB16_46 Depth=1
	s_or_b64 exec, exec, s[24:25]
	s_add_i32 s30, s30, 2
	v_cmp_eq_u32_e32 vcc, s30, v17
	s_or_b64 s[26:27], vcc, s[26:27]
	v_add_u32_e32 v2, 0x510, v2
	s_andn2_b64 exec, exec, s[26:27]
	s_cbranch_execz .LBB16_50
.LBB16_46:                              ; =>This Inner Loop Header: Depth=1
	s_or_b32 s24, s30, 1
	v_cmp_le_u32_e32 vcc, s24, v1
	v_cmp_le_u32_e64 s[24:25], s30, v12
	s_and_saveexec_b64 s[28:29], s[24:25]
	s_cbranch_execz .LBB16_48
; %bb.47:                               ;   in Loop: Header=BB16_46 Depth=1
	ds_write_b32 v2, v5
.LBB16_48:                              ;   in Loop: Header=BB16_46 Depth=1
	s_or_b64 exec, exec, s[28:29]
	s_and_saveexec_b64 s[24:25], vcc
	s_cbranch_execz .LBB16_45
; %bb.49:                               ;   in Loop: Header=BB16_46 Depth=1
	ds_write_b32 v2, v5 offset:648
	s_branch .LBB16_45
.LBB16_50:
	s_or_b64 exec, exec, s[26:27]
	v_bfe_u32 v2, v18, 8, 3
	s_movk_i32 s24, 0xa2
	v_lshrrev_b32_e32 v3, 10, v18
	v_mad_u32_u24 v2, v2, s24, v0
	v_and_b32_e32 v3, 2, v3
	v_lshl_or_b32 v20, v2, 2, v3
	ds_read_u16 v19, v20
	s_waitcnt lgkmcnt(0)
	v_add_u16_e32 v2, 1, v19
	ds_write_b16 v20, v2
	s_waitcnt lgkmcnt(0)
	s_barrier
	ds_read2_b64 v[6:9], v13 offset1:1
	ds_read2_b64 v[2:5], v13 offset0:2 offset1:3
	s_waitcnt lgkmcnt(1)
	v_add_u32_e32 v21, v7, v6
	v_add3_u32 v21, v21, v8, v9
	s_waitcnt lgkmcnt(0)
	v_add3_u32 v21, v21, v2, v3
	v_add3_u32 v5, v21, v4, v5
	s_nop 1
	v_mov_b32_dpp v21, v5 row_shr:1 row_mask:0xf bank_mask:0xf
	v_cndmask_b32_e64 v21, v21, 0, s[22:23]
	v_add_u32_e32 v5, v21, v5
	s_nop 1
	v_mov_b32_dpp v21, v5 row_shr:2 row_mask:0xf bank_mask:0xf
	v_cndmask_b32_e64 v21, 0, v21, s[20:21]
	v_add_u32_e32 v5, v5, v21
	;; [unrolled: 4-line block ×4, first 2 shown]
	s_nop 1
	v_mov_b32_dpp v21, v5 row_bcast:15 row_mask:0xf bank_mask:0xf
	v_cndmask_b32_e64 v21, v21, 0, s[14:15]
	v_add_u32_e32 v5, v5, v21
	s_nop 1
	v_mov_b32_dpp v21, v5 row_bcast:31 row_mask:0xf bank_mask:0xf
	v_cndmask_b32_e64 v21, 0, v21, s[10:11]
	v_add_u32_e32 v21, v5, v21
	s_and_saveexec_b64 s[24:25], s[12:13]
	s_cbranch_execz .LBB16_52
; %bb.51:
	ds_write_b32 v16, v21 offset:5184
.LBB16_52:
	s_or_b64 exec, exec, s[24:25]
	s_waitcnt lgkmcnt(0)
	s_barrier
	s_and_saveexec_b64 s[24:25], s[4:5]
	s_cbranch_execz .LBB16_54
; %bb.53:
	ds_read_b32 v5, v14 offset:5184
	s_waitcnt lgkmcnt(0)
	s_nop 0
	v_mov_b32_dpp v22, v5 row_shr:1 row_mask:0xf bank_mask:0xf
	v_cndmask_b32_e64 v22, v22, 0, s[8:9]
	v_add_u32_e32 v5, v22, v5
	s_nop 1
	v_mov_b32_dpp v22, v5 row_shr:2 row_mask:0xf bank_mask:0xf
	v_cndmask_b32_e64 v22, 0, v22, s[6:7]
	v_add_u32_e32 v5, v5, v22
	ds_write_b32 v14, v5 offset:5184
.LBB16_54:
	s_or_b64 exec, exec, s[24:25]
	v_mov_b32_e32 v5, 0
	v_mov_b32_e32 v22, 0
	s_waitcnt lgkmcnt(0)
	s_barrier
	s_and_saveexec_b64 s[24:25], s[2:3]
	s_cbranch_execz .LBB16_56
; %bb.55:
	ds_read_b32 v22, v16 offset:5180
.LBB16_56:
	s_or_b64 exec, exec, s[24:25]
	s_waitcnt lgkmcnt(0)
	v_add_u32_e32 v21, v22, v21
	ds_bpermute_b32 v21, v15, v21
	ds_read_b32 v23, v5 offset:5192
	s_mov_b32 s30, 0
	s_mov_b64 s[26:27], 0
	s_waitcnt lgkmcnt(1)
	v_cndmask_b32_e64 v21, v21, v22, s[0:1]
	s_waitcnt lgkmcnt(0)
	v_lshl_add_u32 v22, v23, 16, v21
	v_add_u32_e32 v23, v22, v6
	v_add_u32_e32 v6, v23, v7
	;; [unrolled: 1-line block ×7, first 2 shown]
	ds_write2_b64 v13, v[22:23], v[6:7] offset1:1
	ds_write2_b64 v13, v[8:9], v[2:3] offset0:2 offset1:3
	s_waitcnt lgkmcnt(0)
	s_barrier
	ds_read_u16 v2, v20
	v_mov_b32_e32 v3, 2
	v_lshlrev_b32_sdwa v3, v3, v19 dst_sel:DWORD dst_unused:UNUSED_PAD src0_sel:DWORD src1_sel:WORD_0
	s_waitcnt lgkmcnt(0)
	s_barrier
	v_lshl_add_u32 v2, v2, 2, v3
	ds_write_b32 v2, v18
	s_waitcnt lgkmcnt(0)
	s_barrier
	ds_read_b32 v18, v14
	v_mov_b32_e32 v2, v14
	s_waitcnt lgkmcnt(0)
	s_barrier
	s_branch .LBB16_58
.LBB16_57:                              ;   in Loop: Header=BB16_58 Depth=1
	s_or_b64 exec, exec, s[24:25]
	s_add_i32 s30, s30, 2
	v_cmp_eq_u32_e32 vcc, s30, v17
	s_or_b64 s[26:27], vcc, s[26:27]
	v_add_u32_e32 v2, 0x510, v2
	s_andn2_b64 exec, exec, s[26:27]
	s_cbranch_execz .LBB16_62
.LBB16_58:                              ; =>This Inner Loop Header: Depth=1
	s_or_b32 s24, s30, 1
	v_cmp_le_u32_e32 vcc, s24, v1
	v_cmp_le_u32_e64 s[24:25], s30, v12
	s_and_saveexec_b64 s[28:29], s[24:25]
	s_cbranch_execz .LBB16_60
; %bb.59:                               ;   in Loop: Header=BB16_58 Depth=1
	ds_write_b32 v2, v5
.LBB16_60:                              ;   in Loop: Header=BB16_58 Depth=1
	s_or_b64 exec, exec, s[28:29]
	s_and_saveexec_b64 s[24:25], vcc
	s_cbranch_execz .LBB16_57
; %bb.61:                               ;   in Loop: Header=BB16_58 Depth=1
	ds_write_b32 v2, v5 offset:648
	s_branch .LBB16_57
.LBB16_62:
	s_or_b64 exec, exec, s[26:27]
	v_bfe_u32 v2, v18, 12, 3
	s_movk_i32 s24, 0xa2
	v_lshrrev_b32_e32 v3, 14, v18
	v_mad_u32_u24 v2, v2, s24, v0
	v_and_b32_e32 v3, 2, v3
	v_lshl_or_b32 v20, v2, 2, v3
	ds_read_u16 v19, v20
	s_waitcnt lgkmcnt(0)
	v_add_u16_e32 v2, 1, v19
	ds_write_b16 v20, v2
	s_waitcnt lgkmcnt(0)
	s_barrier
	ds_read2_b64 v[6:9], v13 offset1:1
	ds_read2_b64 v[2:5], v13 offset0:2 offset1:3
	s_waitcnt lgkmcnt(1)
	v_add_u32_e32 v21, v7, v6
	v_add3_u32 v21, v21, v8, v9
	s_waitcnt lgkmcnt(0)
	v_add3_u32 v21, v21, v2, v3
	v_add3_u32 v5, v21, v4, v5
	s_nop 1
	v_mov_b32_dpp v21, v5 row_shr:1 row_mask:0xf bank_mask:0xf
	v_cndmask_b32_e64 v21, v21, 0, s[22:23]
	v_add_u32_e32 v5, v21, v5
	s_nop 1
	v_mov_b32_dpp v21, v5 row_shr:2 row_mask:0xf bank_mask:0xf
	v_cndmask_b32_e64 v21, 0, v21, s[20:21]
	v_add_u32_e32 v5, v5, v21
	;; [unrolled: 4-line block ×4, first 2 shown]
	s_nop 1
	v_mov_b32_dpp v21, v5 row_bcast:15 row_mask:0xf bank_mask:0xf
	v_cndmask_b32_e64 v21, v21, 0, s[14:15]
	v_add_u32_e32 v5, v5, v21
	s_nop 1
	v_mov_b32_dpp v21, v5 row_bcast:31 row_mask:0xf bank_mask:0xf
	v_cndmask_b32_e64 v21, 0, v21, s[10:11]
	v_add_u32_e32 v21, v5, v21
	s_and_saveexec_b64 s[24:25], s[12:13]
	s_cbranch_execz .LBB16_64
; %bb.63:
	ds_write_b32 v16, v21 offset:5184
.LBB16_64:
	s_or_b64 exec, exec, s[24:25]
	s_waitcnt lgkmcnt(0)
	s_barrier
	s_and_saveexec_b64 s[24:25], s[4:5]
	s_cbranch_execz .LBB16_66
; %bb.65:
	ds_read_b32 v5, v14 offset:5184
	s_waitcnt lgkmcnt(0)
	s_nop 0
	v_mov_b32_dpp v22, v5 row_shr:1 row_mask:0xf bank_mask:0xf
	v_cndmask_b32_e64 v22, v22, 0, s[8:9]
	v_add_u32_e32 v5, v22, v5
	s_nop 1
	v_mov_b32_dpp v22, v5 row_shr:2 row_mask:0xf bank_mask:0xf
	v_cndmask_b32_e64 v22, 0, v22, s[6:7]
	v_add_u32_e32 v5, v5, v22
	ds_write_b32 v14, v5 offset:5184
.LBB16_66:
	s_or_b64 exec, exec, s[24:25]
	v_mov_b32_e32 v5, 0
	v_mov_b32_e32 v22, 0
	s_waitcnt lgkmcnt(0)
	s_barrier
	s_and_saveexec_b64 s[24:25], s[2:3]
	s_cbranch_execz .LBB16_68
; %bb.67:
	ds_read_b32 v22, v16 offset:5180
.LBB16_68:
	s_or_b64 exec, exec, s[24:25]
	s_waitcnt lgkmcnt(0)
	v_add_u32_e32 v21, v22, v21
	ds_bpermute_b32 v21, v15, v21
	ds_read_b32 v23, v5 offset:5192
	s_mov_b32 s30, 0
	s_mov_b64 s[26:27], 0
	s_waitcnt lgkmcnt(1)
	v_cndmask_b32_e64 v21, v21, v22, s[0:1]
	s_waitcnt lgkmcnt(0)
	v_lshl_add_u32 v22, v23, 16, v21
	v_add_u32_e32 v23, v22, v6
	v_add_u32_e32 v6, v23, v7
	;; [unrolled: 1-line block ×7, first 2 shown]
	ds_write2_b64 v13, v[22:23], v[6:7] offset1:1
	ds_write2_b64 v13, v[8:9], v[2:3] offset0:2 offset1:3
	s_waitcnt lgkmcnt(0)
	s_barrier
	ds_read_u16 v2, v20
	v_mov_b32_e32 v3, 2
	v_lshlrev_b32_sdwa v3, v3, v19 dst_sel:DWORD dst_unused:UNUSED_PAD src0_sel:DWORD src1_sel:WORD_0
	s_waitcnt lgkmcnt(0)
	s_barrier
	v_lshl_add_u32 v2, v2, 2, v3
	ds_write_b32 v2, v18
	s_waitcnt lgkmcnt(0)
	s_barrier
	ds_read_b32 v18, v14
	v_mov_b32_e32 v2, v14
	s_waitcnt lgkmcnt(0)
	s_barrier
	s_branch .LBB16_70
.LBB16_69:                              ;   in Loop: Header=BB16_70 Depth=1
	s_or_b64 exec, exec, s[24:25]
	s_add_i32 s30, s30, 2
	v_cmp_eq_u32_e32 vcc, s30, v17
	s_or_b64 s[26:27], vcc, s[26:27]
	v_add_u32_e32 v2, 0x510, v2
	s_andn2_b64 exec, exec, s[26:27]
	s_cbranch_execz .LBB16_74
.LBB16_70:                              ; =>This Inner Loop Header: Depth=1
	s_or_b32 s24, s30, 1
	v_cmp_le_u32_e32 vcc, s24, v1
	v_cmp_le_u32_e64 s[24:25], s30, v12
	s_and_saveexec_b64 s[28:29], s[24:25]
	s_cbranch_execz .LBB16_72
; %bb.71:                               ;   in Loop: Header=BB16_70 Depth=1
	ds_write_b32 v2, v5
.LBB16_72:                              ;   in Loop: Header=BB16_70 Depth=1
	s_or_b64 exec, exec, s[28:29]
	s_and_saveexec_b64 s[24:25], vcc
	s_cbranch_execz .LBB16_69
; %bb.73:                               ;   in Loop: Header=BB16_70 Depth=1
	ds_write_b32 v2, v5 offset:648
	s_branch .LBB16_69
.LBB16_74:
	s_or_b64 exec, exec, s[26:27]
	v_bfe_u32 v2, v18, 16, 3
	s_movk_i32 s24, 0xa2
	v_lshrrev_b32_e32 v3, 18, v18
	v_mad_u32_u24 v2, v2, s24, v0
	v_and_b32_e32 v3, 2, v3
	v_lshl_or_b32 v20, v2, 2, v3
	ds_read_u16 v19, v20
	s_waitcnt lgkmcnt(0)
	v_add_u16_e32 v2, 1, v19
	ds_write_b16 v20, v2
	s_waitcnt lgkmcnt(0)
	s_barrier
	ds_read2_b64 v[6:9], v13 offset1:1
	ds_read2_b64 v[2:5], v13 offset0:2 offset1:3
	s_waitcnt lgkmcnt(1)
	v_add_u32_e32 v21, v7, v6
	v_add3_u32 v21, v21, v8, v9
	s_waitcnt lgkmcnt(0)
	v_add3_u32 v21, v21, v2, v3
	v_add3_u32 v5, v21, v4, v5
	s_nop 1
	v_mov_b32_dpp v21, v5 row_shr:1 row_mask:0xf bank_mask:0xf
	v_cndmask_b32_e64 v21, v21, 0, s[22:23]
	v_add_u32_e32 v5, v21, v5
	s_nop 1
	v_mov_b32_dpp v21, v5 row_shr:2 row_mask:0xf bank_mask:0xf
	v_cndmask_b32_e64 v21, 0, v21, s[20:21]
	v_add_u32_e32 v5, v5, v21
	;; [unrolled: 4-line block ×4, first 2 shown]
	s_nop 1
	v_mov_b32_dpp v21, v5 row_bcast:15 row_mask:0xf bank_mask:0xf
	v_cndmask_b32_e64 v21, v21, 0, s[14:15]
	v_add_u32_e32 v5, v5, v21
	s_nop 1
	v_mov_b32_dpp v21, v5 row_bcast:31 row_mask:0xf bank_mask:0xf
	v_cndmask_b32_e64 v21, 0, v21, s[10:11]
	v_add_u32_e32 v21, v5, v21
	s_and_saveexec_b64 s[24:25], s[12:13]
	s_cbranch_execz .LBB16_76
; %bb.75:
	ds_write_b32 v16, v21 offset:5184
.LBB16_76:
	s_or_b64 exec, exec, s[24:25]
	s_waitcnt lgkmcnt(0)
	s_barrier
	s_and_saveexec_b64 s[24:25], s[4:5]
	s_cbranch_execz .LBB16_78
; %bb.77:
	ds_read_b32 v5, v14 offset:5184
	s_waitcnt lgkmcnt(0)
	s_nop 0
	v_mov_b32_dpp v22, v5 row_shr:1 row_mask:0xf bank_mask:0xf
	v_cndmask_b32_e64 v22, v22, 0, s[8:9]
	v_add_u32_e32 v5, v22, v5
	s_nop 1
	v_mov_b32_dpp v22, v5 row_shr:2 row_mask:0xf bank_mask:0xf
	v_cndmask_b32_e64 v22, 0, v22, s[6:7]
	v_add_u32_e32 v5, v5, v22
	ds_write_b32 v14, v5 offset:5184
.LBB16_78:
	s_or_b64 exec, exec, s[24:25]
	v_mov_b32_e32 v5, 0
	v_mov_b32_e32 v22, 0
	s_waitcnt lgkmcnt(0)
	s_barrier
	s_and_saveexec_b64 s[24:25], s[2:3]
	s_cbranch_execz .LBB16_80
; %bb.79:
	ds_read_b32 v22, v16 offset:5180
.LBB16_80:
	s_or_b64 exec, exec, s[24:25]
	s_waitcnt lgkmcnt(0)
	v_add_u32_e32 v21, v22, v21
	ds_bpermute_b32 v21, v15, v21
	ds_read_b32 v23, v5 offset:5192
	s_mov_b32 s30, 0
	s_mov_b64 s[26:27], 0
	s_waitcnt lgkmcnt(1)
	v_cndmask_b32_e64 v21, v21, v22, s[0:1]
	s_waitcnt lgkmcnt(0)
	v_lshl_add_u32 v22, v23, 16, v21
	v_add_u32_e32 v23, v22, v6
	v_add_u32_e32 v6, v23, v7
	;; [unrolled: 1-line block ×7, first 2 shown]
	ds_write2_b64 v13, v[22:23], v[6:7] offset1:1
	ds_write2_b64 v13, v[8:9], v[2:3] offset0:2 offset1:3
	s_waitcnt lgkmcnt(0)
	s_barrier
	ds_read_u16 v2, v20
	v_mov_b32_e32 v3, 2
	v_lshlrev_b32_sdwa v3, v3, v19 dst_sel:DWORD dst_unused:UNUSED_PAD src0_sel:DWORD src1_sel:WORD_0
	s_waitcnt lgkmcnt(0)
	s_barrier
	v_lshl_add_u32 v2, v2, 2, v3
	ds_write_b32 v2, v18
	s_waitcnt lgkmcnt(0)
	s_barrier
	ds_read_b32 v18, v14
	v_mov_b32_e32 v2, v14
	s_waitcnt lgkmcnt(0)
	s_barrier
	s_branch .LBB16_82
.LBB16_81:                              ;   in Loop: Header=BB16_82 Depth=1
	s_or_b64 exec, exec, s[24:25]
	s_add_i32 s30, s30, 2
	v_cmp_eq_u32_e32 vcc, s30, v17
	s_or_b64 s[26:27], vcc, s[26:27]
	v_add_u32_e32 v2, 0x510, v2
	s_andn2_b64 exec, exec, s[26:27]
	s_cbranch_execz .LBB16_86
.LBB16_82:                              ; =>This Inner Loop Header: Depth=1
	s_or_b32 s24, s30, 1
	v_cmp_le_u32_e32 vcc, s24, v1
	v_cmp_le_u32_e64 s[24:25], s30, v12
	s_and_saveexec_b64 s[28:29], s[24:25]
	s_cbranch_execz .LBB16_84
; %bb.83:                               ;   in Loop: Header=BB16_82 Depth=1
	ds_write_b32 v2, v5
.LBB16_84:                              ;   in Loop: Header=BB16_82 Depth=1
	s_or_b64 exec, exec, s[28:29]
	s_and_saveexec_b64 s[24:25], vcc
	s_cbranch_execz .LBB16_81
; %bb.85:                               ;   in Loop: Header=BB16_82 Depth=1
	ds_write_b32 v2, v5 offset:648
	s_branch .LBB16_81
.LBB16_86:
	s_or_b64 exec, exec, s[26:27]
	v_bfe_u32 v2, v18, 20, 3
	s_movk_i32 s24, 0xa2
	v_lshrrev_b32_e32 v3, 22, v18
	v_mad_u32_u24 v2, v2, s24, v0
	v_and_b32_e32 v3, 2, v3
	v_lshl_or_b32 v20, v2, 2, v3
	ds_read_u16 v19, v20
	s_waitcnt lgkmcnt(0)
	v_add_u16_e32 v2, 1, v19
	ds_write_b16 v20, v2
	s_waitcnt lgkmcnt(0)
	s_barrier
	ds_read2_b64 v[6:9], v13 offset1:1
	ds_read2_b64 v[2:5], v13 offset0:2 offset1:3
	s_waitcnt lgkmcnt(1)
	v_add_u32_e32 v21, v7, v6
	v_add3_u32 v21, v21, v8, v9
	s_waitcnt lgkmcnt(0)
	v_add3_u32 v21, v21, v2, v3
	v_add3_u32 v5, v21, v4, v5
	s_nop 1
	v_mov_b32_dpp v21, v5 row_shr:1 row_mask:0xf bank_mask:0xf
	v_cndmask_b32_e64 v21, v21, 0, s[22:23]
	v_add_u32_e32 v5, v21, v5
	s_nop 1
	v_mov_b32_dpp v21, v5 row_shr:2 row_mask:0xf bank_mask:0xf
	v_cndmask_b32_e64 v21, 0, v21, s[20:21]
	v_add_u32_e32 v5, v5, v21
	;; [unrolled: 4-line block ×4, first 2 shown]
	s_nop 1
	v_mov_b32_dpp v21, v5 row_bcast:15 row_mask:0xf bank_mask:0xf
	v_cndmask_b32_e64 v21, v21, 0, s[14:15]
	v_add_u32_e32 v5, v5, v21
	s_nop 1
	v_mov_b32_dpp v21, v5 row_bcast:31 row_mask:0xf bank_mask:0xf
	v_cndmask_b32_e64 v21, 0, v21, s[10:11]
	v_add_u32_e32 v21, v5, v21
	s_and_saveexec_b64 s[24:25], s[12:13]
	s_cbranch_execz .LBB16_88
; %bb.87:
	ds_write_b32 v16, v21 offset:5184
.LBB16_88:
	s_or_b64 exec, exec, s[24:25]
	s_waitcnt lgkmcnt(0)
	s_barrier
	s_and_saveexec_b64 s[24:25], s[4:5]
	s_cbranch_execz .LBB16_90
; %bb.89:
	ds_read_b32 v5, v14 offset:5184
	s_waitcnt lgkmcnt(0)
	s_nop 0
	v_mov_b32_dpp v22, v5 row_shr:1 row_mask:0xf bank_mask:0xf
	v_cndmask_b32_e64 v22, v22, 0, s[8:9]
	v_add_u32_e32 v5, v22, v5
	s_nop 1
	v_mov_b32_dpp v22, v5 row_shr:2 row_mask:0xf bank_mask:0xf
	v_cndmask_b32_e64 v22, 0, v22, s[6:7]
	v_add_u32_e32 v5, v5, v22
	ds_write_b32 v14, v5 offset:5184
.LBB16_90:
	s_or_b64 exec, exec, s[24:25]
	v_mov_b32_e32 v5, 0
	v_mov_b32_e32 v22, 0
	s_waitcnt lgkmcnt(0)
	s_barrier
	s_and_saveexec_b64 s[24:25], s[2:3]
	s_cbranch_execz .LBB16_92
; %bb.91:
	ds_read_b32 v22, v16 offset:5180
.LBB16_92:
	s_or_b64 exec, exec, s[24:25]
	s_waitcnt lgkmcnt(0)
	v_add_u32_e32 v21, v22, v21
	ds_bpermute_b32 v21, v15, v21
	ds_read_b32 v23, v5 offset:5192
	s_mov_b32 s30, 0
	s_mov_b64 s[26:27], 0
	s_waitcnt lgkmcnt(1)
	v_cndmask_b32_e64 v21, v21, v22, s[0:1]
	s_waitcnt lgkmcnt(0)
	v_lshl_add_u32 v22, v23, 16, v21
	v_add_u32_e32 v23, v22, v6
	v_add_u32_e32 v6, v23, v7
	;; [unrolled: 1-line block ×7, first 2 shown]
	ds_write2_b64 v13, v[22:23], v[6:7] offset1:1
	ds_write2_b64 v13, v[8:9], v[2:3] offset0:2 offset1:3
	s_waitcnt lgkmcnt(0)
	s_barrier
	ds_read_u16 v2, v20
	v_mov_b32_e32 v3, 2
	v_lshlrev_b32_sdwa v3, v3, v19 dst_sel:DWORD dst_unused:UNUSED_PAD src0_sel:DWORD src1_sel:WORD_0
	s_waitcnt lgkmcnt(0)
	s_barrier
	v_lshl_add_u32 v2, v2, 2, v3
	ds_write_b32 v2, v18
	s_waitcnt lgkmcnt(0)
	s_barrier
	ds_read_b32 v18, v14
	v_mov_b32_e32 v2, v14
	s_waitcnt lgkmcnt(0)
	s_barrier
	s_branch .LBB16_94
.LBB16_93:                              ;   in Loop: Header=BB16_94 Depth=1
	s_or_b64 exec, exec, s[24:25]
	s_add_i32 s30, s30, 2
	v_cmp_eq_u32_e32 vcc, s30, v17
	s_or_b64 s[26:27], vcc, s[26:27]
	v_add_u32_e32 v2, 0x510, v2
	s_andn2_b64 exec, exec, s[26:27]
	s_cbranch_execz .LBB16_98
.LBB16_94:                              ; =>This Inner Loop Header: Depth=1
	s_or_b32 s24, s30, 1
	v_cmp_le_u32_e32 vcc, s24, v1
	v_cmp_le_u32_e64 s[24:25], s30, v12
	s_and_saveexec_b64 s[28:29], s[24:25]
	s_cbranch_execz .LBB16_96
; %bb.95:                               ;   in Loop: Header=BB16_94 Depth=1
	ds_write_b32 v2, v5
.LBB16_96:                              ;   in Loop: Header=BB16_94 Depth=1
	s_or_b64 exec, exec, s[28:29]
	s_and_saveexec_b64 s[24:25], vcc
	s_cbranch_execz .LBB16_93
; %bb.97:                               ;   in Loop: Header=BB16_94 Depth=1
	ds_write_b32 v2, v5 offset:648
	s_branch .LBB16_93
.LBB16_98:
	s_or_b64 exec, exec, s[26:27]
	v_bfe_u32 v2, v18, 24, 3
	s_movk_i32 s24, 0xa2
	v_lshrrev_b32_e32 v3, 26, v18
	v_mad_u32_u24 v2, v2, s24, v0
	v_and_b32_e32 v3, 2, v3
	v_lshl_or_b32 v20, v2, 2, v3
	ds_read_u16 v19, v20
	s_waitcnt lgkmcnt(0)
	v_add_u16_e32 v2, 1, v19
	ds_write_b16 v20, v2
	s_waitcnt lgkmcnt(0)
	s_barrier
	ds_read2_b64 v[6:9], v13 offset1:1
	ds_read2_b64 v[2:5], v13 offset0:2 offset1:3
	s_waitcnt lgkmcnt(1)
	v_add_u32_e32 v21, v7, v6
	v_add3_u32 v21, v21, v8, v9
	s_waitcnt lgkmcnt(0)
	v_add3_u32 v21, v21, v2, v3
	v_add3_u32 v5, v21, v4, v5
	s_nop 1
	v_mov_b32_dpp v21, v5 row_shr:1 row_mask:0xf bank_mask:0xf
	v_cndmask_b32_e64 v21, v21, 0, s[22:23]
	v_add_u32_e32 v5, v21, v5
	s_nop 1
	v_mov_b32_dpp v21, v5 row_shr:2 row_mask:0xf bank_mask:0xf
	v_cndmask_b32_e64 v21, 0, v21, s[20:21]
	v_add_u32_e32 v5, v5, v21
	;; [unrolled: 4-line block ×4, first 2 shown]
	s_nop 1
	v_mov_b32_dpp v21, v5 row_bcast:15 row_mask:0xf bank_mask:0xf
	v_cndmask_b32_e64 v21, v21, 0, s[14:15]
	v_add_u32_e32 v5, v5, v21
	s_nop 1
	v_mov_b32_dpp v21, v5 row_bcast:31 row_mask:0xf bank_mask:0xf
	v_cndmask_b32_e64 v21, 0, v21, s[10:11]
	v_add_u32_e32 v21, v5, v21
	s_and_saveexec_b64 s[24:25], s[12:13]
	s_cbranch_execz .LBB16_100
; %bb.99:
	ds_write_b32 v16, v21 offset:5184
.LBB16_100:
	s_or_b64 exec, exec, s[24:25]
	s_waitcnt lgkmcnt(0)
	s_barrier
	s_and_saveexec_b64 s[24:25], s[4:5]
	s_cbranch_execz .LBB16_102
; %bb.101:
	ds_read_b32 v5, v14 offset:5184
	s_waitcnt lgkmcnt(0)
	s_nop 0
	v_mov_b32_dpp v22, v5 row_shr:1 row_mask:0xf bank_mask:0xf
	v_cndmask_b32_e64 v22, v22, 0, s[8:9]
	v_add_u32_e32 v5, v22, v5
	s_nop 1
	v_mov_b32_dpp v22, v5 row_shr:2 row_mask:0xf bank_mask:0xf
	v_cndmask_b32_e64 v22, 0, v22, s[6:7]
	v_add_u32_e32 v5, v5, v22
	ds_write_b32 v14, v5 offset:5184
.LBB16_102:
	s_or_b64 exec, exec, s[24:25]
	v_mov_b32_e32 v5, 0
	v_mov_b32_e32 v22, 0
	s_waitcnt lgkmcnt(0)
	s_barrier
	s_and_saveexec_b64 s[24:25], s[2:3]
	s_cbranch_execz .LBB16_104
; %bb.103:
	ds_read_b32 v22, v16 offset:5180
.LBB16_104:
	s_or_b64 exec, exec, s[24:25]
	s_waitcnt lgkmcnt(0)
	v_add_u32_e32 v21, v22, v21
	ds_bpermute_b32 v21, v15, v21
	ds_read_b32 v23, v5 offset:5192
	s_mov_b32 s30, 0
	s_mov_b64 s[26:27], 0
	s_waitcnt lgkmcnt(1)
	v_cndmask_b32_e64 v21, v21, v22, s[0:1]
	s_waitcnt lgkmcnt(0)
	v_lshl_add_u32 v22, v23, 16, v21
	v_add_u32_e32 v23, v22, v6
	v_add_u32_e32 v6, v23, v7
	;; [unrolled: 1-line block ×7, first 2 shown]
	ds_write2_b64 v13, v[22:23], v[6:7] offset1:1
	ds_write2_b64 v13, v[8:9], v[2:3] offset0:2 offset1:3
	s_waitcnt lgkmcnt(0)
	s_barrier
	ds_read_u16 v2, v20
	v_mov_b32_e32 v3, 2
	v_lshlrev_b32_sdwa v3, v3, v19 dst_sel:DWORD dst_unused:UNUSED_PAD src0_sel:DWORD src1_sel:WORD_0
	s_waitcnt lgkmcnt(0)
	s_barrier
	v_lshl_add_u32 v2, v2, 2, v3
	ds_write_b32 v2, v18
	s_waitcnt lgkmcnt(0)
	s_barrier
	ds_read_b32 v8, v14
	v_mov_b32_e32 v2, v14
	s_waitcnt lgkmcnt(0)
	s_barrier
	s_branch .LBB16_106
.LBB16_105:                             ;   in Loop: Header=BB16_106 Depth=1
	s_or_b64 exec, exec, s[24:25]
	s_add_i32 s30, s30, 2
	v_cmp_eq_u32_e32 vcc, s30, v17
	s_or_b64 s[26:27], vcc, s[26:27]
	v_add_u32_e32 v2, 0x510, v2
	s_andn2_b64 exec, exec, s[26:27]
	s_cbranch_execz .LBB16_110
.LBB16_106:                             ; =>This Inner Loop Header: Depth=1
	s_or_b32 s24, s30, 1
	v_cmp_le_u32_e32 vcc, s24, v1
	v_cmp_le_u32_e64 s[24:25], s30, v12
	s_and_saveexec_b64 s[28:29], s[24:25]
	s_cbranch_execz .LBB16_108
; %bb.107:                              ;   in Loop: Header=BB16_106 Depth=1
	ds_write_b32 v2, v5
.LBB16_108:                             ;   in Loop: Header=BB16_106 Depth=1
	s_or_b64 exec, exec, s[28:29]
	s_and_saveexec_b64 s[24:25], vcc
	s_cbranch_execz .LBB16_105
; %bb.109:                              ;   in Loop: Header=BB16_106 Depth=1
	ds_write_b32 v2, v5 offset:648
	s_branch .LBB16_105
.LBB16_110:
	s_or_b64 exec, exec, s[26:27]
	v_bfe_u32 v1, v8, 28, 3
	s_movk_i32 s24, 0xa2
	v_mad_u32_u24 v0, v1, s24, v0
	v_alignbit_b32 v0, v0, v8, 31
	v_lshlrev_b32_e32 v12, 1, v0
	ds_read_u16 v9, v12
	s_waitcnt lgkmcnt(0)
	v_add_u16_e32 v0, 1, v9
	ds_write_b16 v12, v0
	s_waitcnt lgkmcnt(0)
	s_barrier
	ds_read2_b64 v[4:7], v13 offset1:1
	ds_read2_b64 v[0:3], v13 offset0:2 offset1:3
	s_waitcnt lgkmcnt(1)
	v_add_u32_e32 v17, v5, v4
	v_add3_u32 v17, v17, v6, v7
	s_waitcnt lgkmcnt(0)
	v_add3_u32 v17, v17, v0, v1
	v_add3_u32 v3, v17, v2, v3
	s_nop 1
	v_mov_b32_dpp v17, v3 row_shr:1 row_mask:0xf bank_mask:0xf
	v_cndmask_b32_e64 v17, v17, 0, s[22:23]
	v_add_u32_e32 v3, v17, v3
	s_nop 1
	v_mov_b32_dpp v17, v3 row_shr:2 row_mask:0xf bank_mask:0xf
	v_cndmask_b32_e64 v17, 0, v17, s[20:21]
	v_add_u32_e32 v3, v3, v17
	;; [unrolled: 4-line block ×4, first 2 shown]
	s_nop 1
	v_mov_b32_dpp v17, v3 row_bcast:15 row_mask:0xf bank_mask:0xf
	v_cndmask_b32_e64 v17, v17, 0, s[14:15]
	v_add_u32_e32 v3, v3, v17
	s_nop 1
	v_mov_b32_dpp v17, v3 row_bcast:31 row_mask:0xf bank_mask:0xf
	v_cndmask_b32_e64 v17, 0, v17, s[10:11]
	v_add_u32_e32 v3, v3, v17
	s_and_saveexec_b64 s[10:11], s[12:13]
	s_cbranch_execz .LBB16_112
; %bb.111:
	ds_write_b32 v16, v3 offset:5184
.LBB16_112:
	s_or_b64 exec, exec, s[10:11]
	s_waitcnt lgkmcnt(0)
	s_barrier
	s_and_saveexec_b64 s[10:11], s[4:5]
	s_cbranch_execz .LBB16_114
; %bb.113:
	ds_read_b32 v17, v14 offset:5184
	s_waitcnt lgkmcnt(0)
	s_nop 0
	v_mov_b32_dpp v18, v17 row_shr:1 row_mask:0xf bank_mask:0xf
	v_cndmask_b32_e64 v18, v18, 0, s[8:9]
	v_add_u32_e32 v17, v18, v17
	s_nop 1
	v_mov_b32_dpp v18, v17 row_shr:2 row_mask:0xf bank_mask:0xf
	v_cndmask_b32_e64 v18, 0, v18, s[6:7]
	v_add_u32_e32 v17, v17, v18
	ds_write_b32 v14, v17 offset:5184
.LBB16_114:
	s_or_b64 exec, exec, s[10:11]
	v_mov_b32_e32 v17, 0
	v_mov_b32_e32 v18, 0
	s_waitcnt lgkmcnt(0)
	s_barrier
	s_and_saveexec_b64 s[4:5], s[2:3]
	s_cbranch_execz .LBB16_116
; %bb.115:
	ds_read_b32 v18, v16 offset:5180
.LBB16_116:
	s_or_b64 exec, exec, s[4:5]
	s_waitcnt lgkmcnt(0)
	v_add_u32_e32 v3, v18, v3
	ds_bpermute_b32 v3, v15, v3
	ds_read_b32 v15, v17 offset:5192
	s_waitcnt lgkmcnt(1)
	v_cndmask_b32_e64 v3, v3, v18, s[0:1]
	s_waitcnt lgkmcnt(0)
	v_lshl_add_u32 v16, v15, 16, v3
	v_add_u32_e32 v17, v16, v4
	v_add_u32_e32 v4, v17, v5
	;; [unrolled: 1-line block ×7, first 2 shown]
	ds_write2_b64 v13, v[16:17], v[4:5] offset1:1
	ds_write2_b64 v13, v[6:7], v[0:1] offset0:2 offset1:3
	s_waitcnt lgkmcnt(0)
	s_barrier
	ds_read_u16 v0, v12
	v_mov_b32_e32 v1, 2
	v_lshlrev_b32_sdwa v1, v1, v9 dst_sel:DWORD dst_unused:UNUSED_PAD src0_sel:DWORD src1_sel:WORD_0
	s_waitcnt lgkmcnt(0)
	s_barrier
	v_lshl_add_u32 v0, v0, 2, v1
	ds_write_b32 v0, v8
	s_waitcnt lgkmcnt(0)
	s_barrier
	ds_read_b32 v0, v14
	s_waitcnt lgkmcnt(0)
	global_store_dword v[10:11], v0, off
	s_endpgm
	.section	.rodata,"a",@progbits
	.p2align	6, 0x0
	.amdhsa_kernel _Z15sort_key_kernelILj162ELj1ELb1ELb0EjEvPT3_jj
		.amdhsa_group_segment_fixed_size 5200
		.amdhsa_private_segment_fixed_size 0
		.amdhsa_kernarg_size 16
		.amdhsa_user_sgpr_count 6
		.amdhsa_user_sgpr_private_segment_buffer 1
		.amdhsa_user_sgpr_dispatch_ptr 0
		.amdhsa_user_sgpr_queue_ptr 0
		.amdhsa_user_sgpr_kernarg_segment_ptr 1
		.amdhsa_user_sgpr_dispatch_id 0
		.amdhsa_user_sgpr_flat_scratch_init 0
		.amdhsa_user_sgpr_kernarg_preload_length 0
		.amdhsa_user_sgpr_kernarg_preload_offset 0
		.amdhsa_user_sgpr_private_segment_size 0
		.amdhsa_uses_dynamic_stack 0
		.amdhsa_system_sgpr_private_segment_wavefront_offset 0
		.amdhsa_system_sgpr_workgroup_id_x 1
		.amdhsa_system_sgpr_workgroup_id_y 0
		.amdhsa_system_sgpr_workgroup_id_z 0
		.amdhsa_system_sgpr_workgroup_info 0
		.amdhsa_system_vgpr_workitem_id 0
		.amdhsa_next_free_vgpr 28
		.amdhsa_next_free_sgpr 34
		.amdhsa_accum_offset 28
		.amdhsa_reserve_vcc 1
		.amdhsa_reserve_flat_scratch 0
		.amdhsa_float_round_mode_32 0
		.amdhsa_float_round_mode_16_64 0
		.amdhsa_float_denorm_mode_32 3
		.amdhsa_float_denorm_mode_16_64 3
		.amdhsa_dx10_clamp 1
		.amdhsa_ieee_mode 1
		.amdhsa_fp16_overflow 0
		.amdhsa_tg_split 0
		.amdhsa_exception_fp_ieee_invalid_op 0
		.amdhsa_exception_fp_denorm_src 0
		.amdhsa_exception_fp_ieee_div_zero 0
		.amdhsa_exception_fp_ieee_overflow 0
		.amdhsa_exception_fp_ieee_underflow 0
		.amdhsa_exception_fp_ieee_inexact 0
		.amdhsa_exception_int_div_zero 0
	.end_amdhsa_kernel
	.section	.text._Z15sort_key_kernelILj162ELj1ELb1ELb0EjEvPT3_jj,"axG",@progbits,_Z15sort_key_kernelILj162ELj1ELb1ELb0EjEvPT3_jj,comdat
.Lfunc_end16:
	.size	_Z15sort_key_kernelILj162ELj1ELb1ELb0EjEvPT3_jj, .Lfunc_end16-_Z15sort_key_kernelILj162ELj1ELb1ELb0EjEvPT3_jj
                                        ; -- End function
	.section	.AMDGPU.csdata,"",@progbits
; Kernel info:
; codeLenInByte = 6596
; NumSgprs: 38
; NumVgprs: 28
; NumAgprs: 0
; TotalNumVgprs: 28
; ScratchSize: 0
; MemoryBound: 0
; FloatMode: 240
; IeeeMode: 1
; LDSByteSize: 5200 bytes/workgroup (compile time only)
; SGPRBlocks: 4
; VGPRBlocks: 3
; NumSGPRsForWavesPerEU: 38
; NumVGPRsForWavesPerEU: 28
; AccumOffset: 28
; Occupancy: 8
; WaveLimiterHint : 0
; COMPUTE_PGM_RSRC2:SCRATCH_EN: 0
; COMPUTE_PGM_RSRC2:USER_SGPR: 6
; COMPUTE_PGM_RSRC2:TRAP_HANDLER: 0
; COMPUTE_PGM_RSRC2:TGID_X_EN: 1
; COMPUTE_PGM_RSRC2:TGID_Y_EN: 0
; COMPUTE_PGM_RSRC2:TGID_Z_EN: 0
; COMPUTE_PGM_RSRC2:TIDIG_COMP_CNT: 0
; COMPUTE_PGM_RSRC3_GFX90A:ACCUM_OFFSET: 6
; COMPUTE_PGM_RSRC3_GFX90A:TG_SPLIT: 0
	.section	.text._Z15sort_key_kernelILj510ELj1ELb0ELb1ExEvPT3_jj,"axG",@progbits,_Z15sort_key_kernelILj510ELj1ELb0ELb1ExEvPT3_jj,comdat
	.protected	_Z15sort_key_kernelILj510ELj1ELb0ELb1ExEvPT3_jj ; -- Begin function _Z15sort_key_kernelILj510ELj1ELb0ELb1ExEvPT3_jj
	.globl	_Z15sort_key_kernelILj510ELj1ELb0ELb1ExEvPT3_jj
	.p2align	8
	.type	_Z15sort_key_kernelILj510ELj1ELb0ELb1ExEvPT3_jj,@function
_Z15sort_key_kernelILj510ELj1ELb0ELb1ExEvPT3_jj: ; @_Z15sort_key_kernelILj510ELj1ELb0ELb1ExEvPT3_jj
; %bb.0:
	s_load_dwordx4 s[28:31], s[4:5], 0x0
	s_mul_i32 s0, s6, 0x1fe
	s_mov_b32 s1, 0
	s_lshl_b64 s[0:1], s[0:1], 3
	v_lshlrev_b32_e32 v1, 3, v0
	s_waitcnt lgkmcnt(0)
	s_add_u32 s28, s28, s0
	s_addc_u32 s29, s29, s1
	global_load_dwordx2 v[2:3], v1, s[28:29]
	v_mbcnt_lo_u32_b32 v4, -1, 0
	v_mbcnt_hi_u32_b32 v4, -1, v4
	v_add_u32_e32 v10, -1, v4
	v_and_b32_e32 v11, 64, v4
	v_lshrrev_b32_e32 v6, 4, v0
	v_cmp_lt_i32_e32 vcc, v10, v11
	v_and_b32_e32 v8, 15, v4
	v_and_b32_e32 v9, 16, v4
	v_cmp_lt_u32_e64 s[4:5], 31, v4
	v_cmp_eq_u32_e64 s[6:7], 0, v4
	v_and_b32_e32 v18, 28, v6
	v_and_b32_e32 v6, 7, v4
	v_cndmask_b32_e32 v4, v10, v4, vcc
	s_cmp_eq_u32 s30, 0
	v_and_b32_e32 v5, 0x1c0, v0
	v_lshlrev_b32_e32 v20, 2, v4
	v_mov_b32_e32 v4, s29
	v_add_co_u32_e32 v10, vcc, s28, v1
	s_cselect_b64 s[28:29], -1, 0
	s_cmp_eq_u32 s31, 64
	v_sub_u32_e32 v7, 0xdf1, v0
	v_min_u32_e32 v5, 0x1be, v5
	s_cselect_b64 s[34:35], -1, 0
	s_movk_i32 s8, 0xffe4
	v_lshlrev_b32_e32 v13, 5, v0
	v_mul_hi_u32_u24_e32 v7, 0x808081, v7
	v_add_u32_e32 v5, 63, v5
	v_addc_co_u32_e32 v11, vcc, 0, v4, vcc
	s_and_b64 s[28:29], s[28:29], s[34:35]
	s_mov_b64 s[26:27], -1
	v_cmp_gt_u32_e64 s[0:1], 8, v0
	v_cmp_lt_u32_e64 s[2:3], 63, v0
	v_lshlrev_b32_e32 v21, 2, v0
	v_mad_i32_i24 v19, v0, s8, v13
	v_cmp_eq_u32_e64 s[8:9], 0, v8
	v_cmp_lt_u32_e64 s[10:11], 1, v8
	v_cmp_lt_u32_e64 s[12:13], 3, v8
	;; [unrolled: 1-line block ×3, first 2 shown]
	v_cmp_eq_u32_e64 s[16:17], 0, v9
	v_cmp_eq_u32_e64 s[18:19], 0, v6
	v_cmp_lt_u32_e64 s[20:21], 1, v6
	v_cmp_lt_u32_e64 s[22:23], 3, v6
	v_add_u32_e32 v22, 3, v7
	v_add_u32_e32 v12, 1, v7
	v_cmp_eq_u32_e64 s[24:25], v5, v0
	s_and_b64 vcc, exec, s[28:29]
	s_waitcnt vmcnt(0)
	v_xor_b32_e32 v15, 0x7fffffff, v3
	v_not_b32_e32 v14, v2
	s_cbranch_vccnz .LBB17_18
; %bb.1:
	v_and_b32_e32 v23, 30, v22
	v_mov_b32_e32 v1, v12
	v_mov_b32_e32 v24, 0
	;; [unrolled: 1-line block ×3, first 2 shown]
	v_pk_mov_b32 v[2:3], v[14:15], v[14:15] op_sel:[0,1]
	s_branch .LBB17_3
.LBB17_2:                               ;   in Loop: Header=BB17_3 Depth=1
	v_add_u32_e32 v2, v19, v21
	s_barrier
	ds_write_b64 v4, v[16:17]
	s_waitcnt lgkmcnt(0)
	s_barrier
	ds_read_b64 v[2:3], v2
	s_waitcnt lgkmcnt(0)
	s_barrier
	s_cbranch_execz .LBB17_17
.LBB17_3:                               ; =>This Loop Header: Depth=1
                                        ;     Child Loop BB17_5 Depth 2
	v_pk_mov_b32 v[16:17], v[2:3], v[2:3] op_sel:[0,1]
	s_mov_b64 s[28:29], 0
	v_mov_b32_e32 v2, v19
	s_mov_b32 s33, 0
	s_branch .LBB17_5
.LBB17_4:                               ;   in Loop: Header=BB17_5 Depth=2
	s_or_b64 exec, exec, s[26:27]
	s_add_i32 s33, s33, 2
	v_cmp_eq_u32_e32 vcc, s33, v23
	s_or_b64 s[28:29], vcc, s[28:29]
	v_add_u32_e32 v2, 0xff0, v2
	s_andn2_b64 exec, exec, s[28:29]
	s_cbranch_execz .LBB17_9
.LBB17_5:                               ;   Parent Loop BB17_3 Depth=1
                                        ; =>  This Inner Loop Header: Depth=2
	s_or_b32 s26, s33, 1
	v_cmp_le_u32_e32 vcc, s26, v1
	v_cmp_le_u32_e64 s[26:27], s33, v12
	s_and_saveexec_b64 s[34:35], s[26:27]
	s_cbranch_execz .LBB17_7
; %bb.6:                                ;   in Loop: Header=BB17_5 Depth=2
	ds_write_b32 v2, v24
.LBB17_7:                               ;   in Loop: Header=BB17_5 Depth=2
	s_or_b64 exec, exec, s[34:35]
	s_and_saveexec_b64 s[26:27], vcc
	s_cbranch_execz .LBB17_4
; %bb.8:                                ;   in Loop: Header=BB17_5 Depth=2
	ds_write_b32 v2, v24 offset:2040
	s_branch .LBB17_4
.LBB17_9:                               ;   in Loop: Header=BB17_3 Depth=1
	s_or_b64 exec, exec, s[28:29]
	s_sub_i32 s26, s31, s30
	s_min_u32 s26, s26, 4
	v_lshrrev_b64 v[2:3], s30, v[16:17]
	v_bfe_u32 v2, v2, 0, s26
	v_and_b32_e32 v3, 7, v2
	v_mul_u32_u24_e32 v3, 0x1fe, v3
	v_lshrrev_b32_e32 v2, 3, v2
	v_add_lshl_u32 v3, v3, v0, 1
	v_add_lshl_u32 v27, v3, v2, 1
	ds_read_u16 v26, v27
	s_waitcnt lgkmcnt(0)
	v_add_u16_e32 v2, 1, v26
	ds_write_b16 v27, v2
	s_waitcnt lgkmcnt(0)
	s_barrier
	ds_read2_b64 v[6:9], v13 offset1:1
	ds_read2_b64 v[2:5], v13 offset0:2 offset1:3
	s_waitcnt lgkmcnt(1)
	v_add_u32_e32 v28, v7, v6
	v_add3_u32 v28, v28, v8, v9
	s_waitcnt lgkmcnt(0)
	v_add3_u32 v28, v28, v2, v3
	v_add3_u32 v5, v28, v4, v5
	s_nop 1
	v_mov_b32_dpp v28, v5 row_shr:1 row_mask:0xf bank_mask:0xf
	v_cndmask_b32_e64 v28, v28, 0, s[8:9]
	v_add_u32_e32 v5, v28, v5
	s_nop 1
	v_mov_b32_dpp v28, v5 row_shr:2 row_mask:0xf bank_mask:0xf
	v_cndmask_b32_e64 v28, 0, v28, s[10:11]
	v_add_u32_e32 v5, v5, v28
	s_nop 1
	v_mov_b32_dpp v28, v5 row_shr:4 row_mask:0xf bank_mask:0xf
	v_cndmask_b32_e64 v28, 0, v28, s[12:13]
	v_add_u32_e32 v5, v5, v28
	s_nop 1
	v_mov_b32_dpp v28, v5 row_shr:8 row_mask:0xf bank_mask:0xf
	v_cndmask_b32_e64 v28, 0, v28, s[14:15]
	v_add_u32_e32 v5, v5, v28
	s_nop 1
	v_mov_b32_dpp v28, v5 row_bcast:15 row_mask:0xf bank_mask:0xf
	v_cndmask_b32_e64 v28, v28, 0, s[16:17]
	v_add_u32_e32 v5, v5, v28
	s_nop 1
	v_mov_b32_dpp v28, v5 row_bcast:31 row_mask:0xf bank_mask:0xf
	v_cndmask_b32_e64 v28, 0, v28, s[4:5]
	v_add_u32_e32 v5, v5, v28
	s_and_saveexec_b64 s[26:27], s[24:25]
	s_cbranch_execz .LBB17_11
; %bb.10:                               ;   in Loop: Header=BB17_3 Depth=1
	ds_write_b32 v18, v5 offset:16320
.LBB17_11:                              ;   in Loop: Header=BB17_3 Depth=1
	s_or_b64 exec, exec, s[26:27]
	s_waitcnt lgkmcnt(0)
	s_barrier
	s_and_saveexec_b64 s[26:27], s[0:1]
	s_cbranch_execz .LBB17_13
; %bb.12:                               ;   in Loop: Header=BB17_3 Depth=1
	ds_read_b32 v28, v19 offset:16320
	s_waitcnt lgkmcnt(0)
	s_nop 0
	v_mov_b32_dpp v29, v28 row_shr:1 row_mask:0xf bank_mask:0xf
	v_cndmask_b32_e64 v29, v29, 0, s[18:19]
	v_add_u32_e32 v28, v29, v28
	s_nop 1
	v_mov_b32_dpp v29, v28 row_shr:2 row_mask:0xf bank_mask:0xf
	v_cndmask_b32_e64 v29, 0, v29, s[20:21]
	v_add_u32_e32 v28, v28, v29
	;; [unrolled: 4-line block ×3, first 2 shown]
	ds_write_b32 v19, v28 offset:16320
.LBB17_13:                              ;   in Loop: Header=BB17_3 Depth=1
	s_or_b64 exec, exec, s[26:27]
	v_mov_b32_e32 v28, 0
	s_waitcnt lgkmcnt(0)
	s_barrier
	s_and_saveexec_b64 s[26:27], s[2:3]
	s_cbranch_execz .LBB17_15
; %bb.14:                               ;   in Loop: Header=BB17_3 Depth=1
	ds_read_b32 v28, v18 offset:16316
.LBB17_15:                              ;   in Loop: Header=BB17_3 Depth=1
	s_or_b64 exec, exec, s[26:27]
	s_waitcnt lgkmcnt(0)
	v_add_u32_e32 v5, v28, v5
	ds_bpermute_b32 v5, v20, v5
	ds_read_b32 v29, v24 offset:16348
	s_add_i32 s30, s30, 4
	s_cmp_ge_u32 s30, s31
	s_waitcnt lgkmcnt(1)
	v_cndmask_b32_e64 v5, v5, v28, s[6:7]
	s_waitcnt lgkmcnt(0)
	v_lshl_add_u32 v28, v29, 16, v5
	v_add_u32_e32 v29, v28, v6
	v_add_u32_e32 v6, v29, v7
	;; [unrolled: 1-line block ×7, first 2 shown]
	ds_write2_b64 v13, v[28:29], v[6:7] offset1:1
	ds_write2_b64 v13, v[8:9], v[2:3] offset0:2 offset1:3
	s_waitcnt lgkmcnt(0)
	s_barrier
	ds_read_u16 v2, v27
	v_lshlrev_b32_sdwa v3, v25, v26 dst_sel:DWORD dst_unused:UNUSED_PAD src0_sel:DWORD src1_sel:WORD_0
	s_waitcnt lgkmcnt(0)
	v_lshl_add_u32 v4, v2, 3, v3
	s_cbranch_scc0 .LBB17_2
; %bb.16:
                                        ; implicit-def: $vgpr2_vgpr3
.LBB17_17:
	s_mov_b64 s[26:27], 0
	s_barrier
	ds_write_b64 v4, v[16:17]
	s_waitcnt lgkmcnt(0)
	s_barrier
.LBB17_18:
	s_and_b64 vcc, exec, s[26:27]
	v_add_u32_e32 v21, v19, v21
	s_cbranch_vccz .LBB17_36
; %bb.19:
	v_and_b32_e32 v22, 30, v22
	v_mov_b32_e32 v1, v12
	s_mov_b32 s34, 0
	v_mov_b32_e32 v23, 0
	s_movk_i32 s33, 0x1fe
	s_branch .LBB17_21
.LBB17_20:                              ;   in Loop: Header=BB17_21 Depth=1
	v_lshlrev_b32_e32 v3, 3, v2
	s_barrier
	ds_write_b64 v3, v[16:17]
	s_waitcnt lgkmcnt(0)
	s_barrier
	ds_read_b64 v[14:15], v21
	s_add_i32 s34, s34, 4
	s_waitcnt lgkmcnt(0)
	s_barrier
	s_cbranch_execz .LBB17_35
.LBB17_21:                              ; =>This Loop Header: Depth=1
                                        ;     Child Loop BB17_23 Depth 2
	v_pk_mov_b32 v[16:17], v[14:15], v[14:15] op_sel:[0,1]
	s_mov_b64 s[28:29], 0
	v_mov_b32_e32 v2, v19
	s_mov_b32 s35, 0
	s_branch .LBB17_23
.LBB17_22:                              ;   in Loop: Header=BB17_23 Depth=2
	s_or_b64 exec, exec, s[26:27]
	s_add_i32 s35, s35, 2
	v_cmp_eq_u32_e32 vcc, s35, v22
	s_or_b64 s[28:29], vcc, s[28:29]
	v_add_u32_e32 v2, 0xff0, v2
	s_andn2_b64 exec, exec, s[28:29]
	s_cbranch_execz .LBB17_27
.LBB17_23:                              ;   Parent Loop BB17_21 Depth=1
                                        ; =>  This Inner Loop Header: Depth=2
	s_or_b32 s26, s35, 1
	v_cmp_le_u32_e32 vcc, s26, v1
	v_cmp_le_u32_e64 s[26:27], s35, v12
	s_and_saveexec_b64 s[30:31], s[26:27]
	s_cbranch_execz .LBB17_25
; %bb.24:                               ;   in Loop: Header=BB17_23 Depth=2
	ds_write_b32 v2, v23
.LBB17_25:                              ;   in Loop: Header=BB17_23 Depth=2
	s_or_b64 exec, exec, s[30:31]
	s_and_saveexec_b64 s[26:27], vcc
	s_cbranch_execz .LBB17_22
; %bb.26:                               ;   in Loop: Header=BB17_23 Depth=2
	ds_write_b32 v2, v23 offset:2040
	s_branch .LBB17_22
.LBB17_27:                              ;   in Loop: Header=BB17_21 Depth=1
	s_or_b64 exec, exec, s[28:29]
	v_lshrrev_b64 v[2:3], s34, v[16:17]
	v_and_b32_e32 v3, 7, v2
	v_lshrrev_b32_e32 v2, 2, v2
	v_mad_u32_u24 v3, v3, s33, v0
	v_and_b32_e32 v2, 2, v2
	v_lshl_or_b32 v15, v3, 2, v2
	ds_read_u16 v14, v15
	s_waitcnt lgkmcnt(0)
	v_add_u16_e32 v2, 1, v14
	ds_write_b16 v15, v2
	s_waitcnt lgkmcnt(0)
	s_barrier
	ds_read2_b64 v[6:9], v13 offset1:1
	ds_read2_b64 v[2:5], v13 offset0:2 offset1:3
	s_waitcnt lgkmcnt(1)
	v_add_u32_e32 v24, v7, v6
	v_add3_u32 v24, v24, v8, v9
	s_waitcnt lgkmcnt(0)
	v_add3_u32 v24, v24, v2, v3
	v_add3_u32 v5, v24, v4, v5
	s_nop 1
	v_mov_b32_dpp v24, v5 row_shr:1 row_mask:0xf bank_mask:0xf
	v_cndmask_b32_e64 v24, v24, 0, s[8:9]
	v_add_u32_e32 v5, v24, v5
	s_nop 1
	v_mov_b32_dpp v24, v5 row_shr:2 row_mask:0xf bank_mask:0xf
	v_cndmask_b32_e64 v24, 0, v24, s[10:11]
	v_add_u32_e32 v5, v5, v24
	s_nop 1
	v_mov_b32_dpp v24, v5 row_shr:4 row_mask:0xf bank_mask:0xf
	v_cndmask_b32_e64 v24, 0, v24, s[12:13]
	v_add_u32_e32 v5, v5, v24
	s_nop 1
	v_mov_b32_dpp v24, v5 row_shr:8 row_mask:0xf bank_mask:0xf
	v_cndmask_b32_e64 v24, 0, v24, s[14:15]
	v_add_u32_e32 v5, v5, v24
	s_nop 1
	v_mov_b32_dpp v24, v5 row_bcast:15 row_mask:0xf bank_mask:0xf
	v_cndmask_b32_e64 v24, v24, 0, s[16:17]
	v_add_u32_e32 v5, v5, v24
	s_nop 1
	v_mov_b32_dpp v24, v5 row_bcast:31 row_mask:0xf bank_mask:0xf
	v_cndmask_b32_e64 v24, 0, v24, s[4:5]
	v_add_u32_e32 v5, v5, v24
	s_and_saveexec_b64 s[26:27], s[24:25]
	s_cbranch_execz .LBB17_29
; %bb.28:                               ;   in Loop: Header=BB17_21 Depth=1
	ds_write_b32 v18, v5 offset:16320
.LBB17_29:                              ;   in Loop: Header=BB17_21 Depth=1
	s_or_b64 exec, exec, s[26:27]
	s_waitcnt lgkmcnt(0)
	s_barrier
	s_and_saveexec_b64 s[26:27], s[0:1]
	s_cbranch_execz .LBB17_31
; %bb.30:                               ;   in Loop: Header=BB17_21 Depth=1
	ds_read_b32 v24, v19 offset:16320
	s_waitcnt lgkmcnt(0)
	s_nop 0
	v_mov_b32_dpp v25, v24 row_shr:1 row_mask:0xf bank_mask:0xf
	v_cndmask_b32_e64 v25, v25, 0, s[18:19]
	v_add_u32_e32 v24, v25, v24
	s_nop 1
	v_mov_b32_dpp v25, v24 row_shr:2 row_mask:0xf bank_mask:0xf
	v_cndmask_b32_e64 v25, 0, v25, s[20:21]
	v_add_u32_e32 v24, v24, v25
	;; [unrolled: 4-line block ×3, first 2 shown]
	ds_write_b32 v19, v24 offset:16320
.LBB17_31:                              ;   in Loop: Header=BB17_21 Depth=1
	s_or_b64 exec, exec, s[26:27]
	v_mov_b32_e32 v24, 0
	s_waitcnt lgkmcnt(0)
	s_barrier
	s_and_saveexec_b64 s[26:27], s[2:3]
	s_cbranch_execz .LBB17_33
; %bb.32:                               ;   in Loop: Header=BB17_21 Depth=1
	ds_read_b32 v24, v18 offset:16316
.LBB17_33:                              ;   in Loop: Header=BB17_21 Depth=1
	s_or_b64 exec, exec, s[26:27]
	s_waitcnt lgkmcnt(0)
	v_add_u32_e32 v5, v24, v5
	ds_bpermute_b32 v5, v20, v5
	ds_read_b32 v25, v23 offset:16348
	s_cmp_gt_u32 s34, 59
	s_waitcnt lgkmcnt(1)
	v_cndmask_b32_e64 v5, v5, v24, s[6:7]
	s_waitcnt lgkmcnt(0)
	v_lshl_add_u32 v24, v25, 16, v5
	v_add_u32_e32 v25, v24, v6
	v_add_u32_e32 v6, v25, v7
	;; [unrolled: 1-line block ×7, first 2 shown]
	ds_write2_b64 v13, v[24:25], v[6:7] offset1:1
	ds_write2_b64 v13, v[8:9], v[2:3] offset0:2 offset1:3
	s_waitcnt lgkmcnt(0)
	s_barrier
	ds_read_u16 v2, v15
	s_waitcnt lgkmcnt(0)
	v_add_u32_sdwa v2, v2, v14 dst_sel:DWORD dst_unused:UNUSED_PAD src0_sel:DWORD src1_sel:WORD_0
	s_cbranch_scc0 .LBB17_20
; %bb.34:
                                        ; implicit-def: $sgpr34
                                        ; implicit-def: $vgpr14_vgpr15
.LBB17_35:
	v_lshlrev_b32_e32 v0, 3, v2
	s_barrier
	ds_write_b64 v0, v[16:17]
	s_waitcnt lgkmcnt(0)
	s_barrier
.LBB17_36:
	ds_read_b64 v[0:1], v21
	s_waitcnt lgkmcnt(0)
	v_xor_b32_e32 v1, 0x7fffffff, v1
	v_not_b32_e32 v0, v0
	global_store_dwordx2 v[10:11], v[0:1], off
	s_endpgm
	.section	.rodata,"a",@progbits
	.p2align	6, 0x0
	.amdhsa_kernel _Z15sort_key_kernelILj510ELj1ELb0ELb1ExEvPT3_jj
		.amdhsa_group_segment_fixed_size 16352
		.amdhsa_private_segment_fixed_size 0
		.amdhsa_kernarg_size 16
		.amdhsa_user_sgpr_count 6
		.amdhsa_user_sgpr_private_segment_buffer 1
		.amdhsa_user_sgpr_dispatch_ptr 0
		.amdhsa_user_sgpr_queue_ptr 0
		.amdhsa_user_sgpr_kernarg_segment_ptr 1
		.amdhsa_user_sgpr_dispatch_id 0
		.amdhsa_user_sgpr_flat_scratch_init 0
		.amdhsa_user_sgpr_kernarg_preload_length 0
		.amdhsa_user_sgpr_kernarg_preload_offset 0
		.amdhsa_user_sgpr_private_segment_size 0
		.amdhsa_uses_dynamic_stack 0
		.amdhsa_system_sgpr_private_segment_wavefront_offset 0
		.amdhsa_system_sgpr_workgroup_id_x 1
		.amdhsa_system_sgpr_workgroup_id_y 0
		.amdhsa_system_sgpr_workgroup_id_z 0
		.amdhsa_system_sgpr_workgroup_info 0
		.amdhsa_system_vgpr_workitem_id 0
		.amdhsa_next_free_vgpr 30
		.amdhsa_next_free_sgpr 36
		.amdhsa_accum_offset 32
		.amdhsa_reserve_vcc 1
		.amdhsa_reserve_flat_scratch 0
		.amdhsa_float_round_mode_32 0
		.amdhsa_float_round_mode_16_64 0
		.amdhsa_float_denorm_mode_32 3
		.amdhsa_float_denorm_mode_16_64 3
		.amdhsa_dx10_clamp 1
		.amdhsa_ieee_mode 1
		.amdhsa_fp16_overflow 0
		.amdhsa_tg_split 0
		.amdhsa_exception_fp_ieee_invalid_op 0
		.amdhsa_exception_fp_denorm_src 0
		.amdhsa_exception_fp_ieee_div_zero 0
		.amdhsa_exception_fp_ieee_overflow 0
		.amdhsa_exception_fp_ieee_underflow 0
		.amdhsa_exception_fp_ieee_inexact 0
		.amdhsa_exception_int_div_zero 0
	.end_amdhsa_kernel
	.section	.text._Z15sort_key_kernelILj510ELj1ELb0ELb1ExEvPT3_jj,"axG",@progbits,_Z15sort_key_kernelILj510ELj1ELb0ELb1ExEvPT3_jj,comdat
.Lfunc_end17:
	.size	_Z15sort_key_kernelILj510ELj1ELb0ELb1ExEvPT3_jj, .Lfunc_end17-_Z15sort_key_kernelILj510ELj1ELb0ELb1ExEvPT3_jj
                                        ; -- End function
	.section	.AMDGPU.csdata,"",@progbits
; Kernel info:
; codeLenInByte = 1948
; NumSgprs: 40
; NumVgprs: 30
; NumAgprs: 0
; TotalNumVgprs: 30
; ScratchSize: 0
; MemoryBound: 0
; FloatMode: 240
; IeeeMode: 1
; LDSByteSize: 16352 bytes/workgroup (compile time only)
; SGPRBlocks: 4
; VGPRBlocks: 3
; NumSGPRsForWavesPerEU: 40
; NumVGPRsForWavesPerEU: 30
; AccumOffset: 32
; Occupancy: 8
; WaveLimiterHint : 0
; COMPUTE_PGM_RSRC2:SCRATCH_EN: 0
; COMPUTE_PGM_RSRC2:USER_SGPR: 6
; COMPUTE_PGM_RSRC2:TRAP_HANDLER: 0
; COMPUTE_PGM_RSRC2:TGID_X_EN: 1
; COMPUTE_PGM_RSRC2:TGID_Y_EN: 0
; COMPUTE_PGM_RSRC2:TGID_Z_EN: 0
; COMPUTE_PGM_RSRC2:TIDIG_COMP_CNT: 0
; COMPUTE_PGM_RSRC3_GFX90A:ACCUM_OFFSET: 7
; COMPUTE_PGM_RSRC3_GFX90A:TG_SPLIT: 0
	.section	.text._Z15sort_key_kernelILj37ELj1ELb0ELb0E6__halfEvPT3_jj,"axG",@progbits,_Z15sort_key_kernelILj37ELj1ELb0ELb0E6__halfEvPT3_jj,comdat
	.protected	_Z15sort_key_kernelILj37ELj1ELb0ELb0E6__halfEvPT3_jj ; -- Begin function _Z15sort_key_kernelILj37ELj1ELb0ELb0E6__halfEvPT3_jj
	.globl	_Z15sort_key_kernelILj37ELj1ELb0ELb0E6__halfEvPT3_jj
	.p2align	8
	.type	_Z15sort_key_kernelILj37ELj1ELb0ELb0E6__halfEvPT3_jj,@function
_Z15sort_key_kernelILj37ELj1ELb0ELb0E6__halfEvPT3_jj: ; @_Z15sort_key_kernelILj37ELj1ELb0ELb0E6__halfEvPT3_jj
; %bb.0:
	s_load_dwordx4 s[24:27], s[4:5], 0x0
	s_mul_i32 s0, s6, 37
	s_mov_b32 s1, 0
	s_lshl_b64 s[0:1], s[0:1], 1
	v_lshlrev_b32_e32 v1, 1, v0
	s_waitcnt lgkmcnt(0)
	s_add_u32 s18, s24, s0
	s_addc_u32 s19, s25, s1
	global_load_ushort v2, v1, s[18:19]
	v_mbcnt_lo_u32_b32 v3, -1, 0
	v_mbcnt_hi_u32_b32 v3, -1, v3
	v_add_u32_e32 v6, -1, v3
	v_and_b32_e32 v7, 64, v3
	s_movk_i32 s0, 0x128
	v_cmp_lt_i32_e32 vcc, v6, v7
	v_cmp_gt_u32_e64 s[16:17], s0, v0
	v_and_b32_e32 v4, 15, v3
	v_and_b32_e32 v5, 16, v3
	v_cmp_lt_u32_e64 s[4:5], 31, v3
	v_cmp_eq_u32_e64 s[0:1], 0, v3
	v_cndmask_b32_e32 v3, v6, v3, vcc
	s_cmp_eq_u32 s26, 0
	v_lshlrev_b32_e32 v16, 2, v3
	v_mov_b32_e32 v3, s19
	v_add_co_u32_e32 v10, vcc, s18, v1
	s_cselect_b64 s[18:19], -1, 0
	s_cmp_eq_u32 s27, 16
	s_cselect_b64 s[22:23], -1, 0
	v_addc_co_u32_e32 v11, vcc, 0, v3, vcc
	s_and_b64 s[18:19], s[18:19], s[22:23]
	v_mov_b32_e32 v18, 0xffff8000
	s_and_b64 vcc, exec, s[18:19]
	s_mov_b64 s[20:21], -1
	v_lshlrev_b32_e32 v13, 5, v0
	v_cmp_eq_u32_e64 s[2:3], 36, v0
	v_mul_i32_i24_e32 v15, 0xffffffe2, v0
	v_cmp_eq_u32_e64 s[14:15], 0, v4
	v_cmp_lt_u32_e64 s[12:13], 1, v4
	v_cmp_lt_u32_e64 s[10:11], 3, v4
	;; [unrolled: 1-line block ×3, first 2 shown]
	v_cmp_eq_u32_e64 s[6:7], 0, v5
	s_waitcnt vmcnt(0)
	v_cmp_lt_i16_e64 s[18:19], -1, v2
	v_cndmask_b32_e64 v1, -1, v18, s[18:19]
	v_xor_b32_e32 v17, v1, v2
	s_cbranch_vccnz .LBB18_36
; %bb.1:
	s_movk_i32 s18, 0x103
	v_bfrev_b32_e32 v2, -4.0
	v_cmp_gt_u32_e32 vcc, s18, v0
	v_subb_co_u32_e64 v2, s[18:19], v2, v0, vcc
	s_mov_b32 s18, 0xbacf914d
	v_sub_u32_e32 v1, 0x103, v0
	v_mul_hi_u32 v2, v2, s18
	v_subb_co_u32_e64 v1, s[18:19], v1, v2, vcc
	v_lshrrev_b32_e32 v1, 1, v1
	v_add_u32_e32 v1, v1, v2
	v_lshrrev_b32_e32 v1, 5, v1
	v_addc_co_u32_e32 v12, vcc, 0, v1, vcc
	v_lshrrev_b32_e32 v1, 1, v12
	v_add_u32_e32 v2, 1, v1
	v_and_b32_e32 v3, 3, v2
	v_mov_b32_e32 v1, v12
	v_cmp_lt_u32_e64 s[18:19], 5, v12
	v_and_b32_e32 v19, 0xffffffc, v2
	v_cmp_ne_u32_e64 s[20:21], 0, v3
	v_lshlrev_b32_e32 v14, 2, v0
	s_movk_i32 s33, 0x94
	v_mul_u32_u24_e32 v20, 0x94, v3
	v_mov_b32_e32 v21, 0
	s_movk_i32 s36, 0x7fff
	v_mov_b32_e32 v22, 1
	v_mov_b32_e32 v3, v17
	s_branch .LBB18_3
.LBB18_2:                               ;   in Loop: Header=BB18_3 Depth=1
	v_add_u32_e32 v3, v13, v15
	; wave barrier
	ds_write_b16 v2, v23
	s_waitcnt lgkmcnt(0)
	; wave barrier
	s_waitcnt lgkmcnt(0)
	ds_read_u16 v3, v3
	s_waitcnt lgkmcnt(0)
	; wave barrier
	s_waitcnt lgkmcnt(0)
	s_cbranch_execz .LBB18_35
.LBB18_3:                               ; =>This Loop Header: Depth=1
                                        ;     Child Loop BB18_7 Depth 2
                                        ;     Child Loop BB18_27 Depth 2
	v_mov_b32_e32 v23, v3
	s_and_saveexec_b64 s[24:25], s[16:17]
	s_cbranch_execz .LBB18_31
; %bb.4:                                ;   in Loop: Header=BB18_3 Depth=1
	v_mov_b32_e32 v4, 0
	s_and_saveexec_b64 s[28:29], s[18:19]
	s_cbranch_execz .LBB18_24
; %bb.5:                                ;   in Loop: Header=BB18_3 Depth=1
	s_mov_b32 s37, 0
	s_mov_b64 s[30:31], 0
	v_mov_b32_e32 v2, v19
	v_mov_b32_e32 v3, v14
	s_branch .LBB18_7
.LBB18_6:                               ;   in Loop: Header=BB18_7 Depth=2
	s_or_b64 exec, exec, s[22:23]
	v_add_u32_e32 v2, -4, v2
	s_add_i32 s22, s37, 8
	v_cmp_eq_u32_e32 vcc, 0, v2
	s_add_i32 s37, s38, 2
	v_add_u32_e32 v3, 0x4a0, v3
	s_or_b64 s[30:31], vcc, s[30:31]
	v_mov_b32_e32 v4, s22
	s_andn2_b64 exec, exec, s[30:31]
	s_cbranch_execz .LBB18_23
.LBB18_7:                               ;   Parent Loop BB18_3 Depth=1
                                        ; =>  This Inner Loop Header: Depth=2
	s_or_b32 s22, s37, 1
	v_cmp_le_u32_e32 vcc, s22, v1
	v_cmp_le_u32_e64 s[22:23], s37, v12
	s_and_saveexec_b64 s[34:35], s[22:23]
	s_cbranch_execz .LBB18_9
; %bb.8:                                ;   in Loop: Header=BB18_7 Depth=2
	ds_write_b32 v3, v21
.LBB18_9:                               ;   in Loop: Header=BB18_7 Depth=2
	s_or_b64 exec, exec, s[34:35]
	s_and_saveexec_b64 s[22:23], vcc
	s_cbranch_execz .LBB18_11
; %bb.10:                               ;   in Loop: Header=BB18_7 Depth=2
	ds_write_b32 v3, v21 offset:148
.LBB18_11:                              ;   in Loop: Header=BB18_7 Depth=2
	s_or_b64 exec, exec, s[22:23]
	s_add_i32 s38, s37, 2
	s_add_i32 s22, s37, 3
	v_cmp_le_u32_e32 vcc, s22, v1
	v_cmp_le_u32_e64 s[22:23], s38, v12
	s_and_saveexec_b64 s[34:35], s[22:23]
	s_cbranch_execz .LBB18_13
; %bb.12:                               ;   in Loop: Header=BB18_7 Depth=2
	ds_write_b32 v3, v21 offset:296
.LBB18_13:                              ;   in Loop: Header=BB18_7 Depth=2
	s_or_b64 exec, exec, s[34:35]
	s_and_saveexec_b64 s[22:23], vcc
	s_cbranch_execz .LBB18_15
; %bb.14:                               ;   in Loop: Header=BB18_7 Depth=2
	ds_write_b32 v3, v21 offset:444
.LBB18_15:                              ;   in Loop: Header=BB18_7 Depth=2
	s_or_b64 exec, exec, s[22:23]
	s_add_i32 s39, s38, 2
	s_add_i32 s38, s38, 3
	v_cmp_le_u32_e32 vcc, s38, v1
	v_cmp_le_u32_e64 s[22:23], s39, v12
	s_and_saveexec_b64 s[34:35], s[22:23]
	s_cbranch_execz .LBB18_17
; %bb.16:                               ;   in Loop: Header=BB18_7 Depth=2
	ds_write_b32 v3, v21 offset:592
.LBB18_17:                              ;   in Loop: Header=BB18_7 Depth=2
	;; [unrolled: 16-line block ×3, first 2 shown]
	s_or_b64 exec, exec, s[34:35]
	s_and_saveexec_b64 s[22:23], vcc
	s_cbranch_execz .LBB18_6
; %bb.22:                               ;   in Loop: Header=BB18_7 Depth=2
	ds_write_b32 v3, v21 offset:1036
	s_branch .LBB18_6
.LBB18_23:                              ;   in Loop: Header=BB18_3 Depth=1
	s_or_b64 exec, exec, s[30:31]
.LBB18_24:                              ;   in Loop: Header=BB18_3 Depth=1
	s_or_b64 exec, exec, s[28:29]
	s_and_b64 exec, exec, s[20:21]
	s_cbranch_execz .LBB18_31
; %bb.25:                               ;   in Loop: Header=BB18_3 Depth=1
	v_mad_u64_u32 v[2:3], s[22:23], v4, s33, v[14:15]
	s_mov_b64 s[28:29], 0
	v_mov_b32_e32 v3, v20
	s_branch .LBB18_27
.LBB18_26:                              ;   in Loop: Header=BB18_27 Depth=2
	s_or_b64 exec, exec, s[22:23]
	v_add_u32_e32 v3, 0xffffff6c, v3
	v_cmp_eq_u32_e32 vcc, 0, v3
	v_add_u32_e32 v4, 2, v4
	s_or_b64 s[28:29], vcc, s[28:29]
	v_add_u32_e32 v2, 0x128, v2
	s_andn2_b64 exec, exec, s[28:29]
	s_cbranch_execz .LBB18_31
.LBB18_27:                              ;   Parent Loop BB18_3 Depth=1
                                        ; =>  This Inner Loop Header: Depth=2
	v_or_b32_e32 v5, 1, v4
	v_cmp_le_u32_e32 vcc, v5, v1
	v_cmp_le_u32_e64 s[22:23], v4, v12
	s_and_saveexec_b64 s[30:31], s[22:23]
	s_cbranch_execz .LBB18_29
; %bb.28:                               ;   in Loop: Header=BB18_27 Depth=2
	ds_write_b32 v2, v21
.LBB18_29:                              ;   in Loop: Header=BB18_27 Depth=2
	s_or_b64 exec, exec, s[30:31]
	s_and_saveexec_b64 s[22:23], vcc
	s_cbranch_execz .LBB18_26
; %bb.30:                               ;   in Loop: Header=BB18_27 Depth=2
	ds_write_b32 v2, v21 offset:148
	s_branch .LBB18_26
.LBB18_31:                              ;   in Loop: Header=BB18_3 Depth=1
	s_or_b64 exec, exec, s[24:25]
	v_cmp_ne_u16_e32 vcc, s36, v23
	s_sub_i32 s22, s27, s26
	v_cndmask_b32_e32 v2, v18, v23, vcc
	s_min_u32 s22, s22, 4
	v_lshrrev_b32_sdwa v2, s26, v2 dst_sel:DWORD dst_unused:UNUSED_PAD src0_sel:DWORD src1_sel:WORD_0
	v_bfe_u32 v2, v2, 0, s22
	v_and_b32_e32 v3, 7, v2
	v_mul_u32_u24_e32 v3, 37, v3
	v_lshrrev_b32_e32 v2, 3, v2
	v_add_lshl_u32 v3, v3, v0, 1
	v_add_lshl_u32 v25, v3, v2, 1
	ds_read_u16 v24, v25
	s_waitcnt lgkmcnt(0)
	v_add_u16_e32 v2, 1, v24
	ds_write_b16 v25, v2
	s_waitcnt lgkmcnt(0)
	; wave barrier
	s_waitcnt lgkmcnt(0)
	ds_read2_b64 v[6:9], v13 offset1:1
	ds_read2_b64 v[2:5], v13 offset0:2 offset1:3
	s_waitcnt lgkmcnt(1)
	v_add_u32_e32 v26, v7, v6
	v_add3_u32 v26, v26, v8, v9
	s_waitcnt lgkmcnt(0)
	v_add3_u32 v26, v26, v2, v3
	v_add3_u32 v5, v26, v4, v5
	s_nop 1
	v_mov_b32_dpp v26, v5 row_shr:1 row_mask:0xf bank_mask:0xf
	v_cndmask_b32_e64 v26, v26, 0, s[14:15]
	v_add_u32_e32 v5, v26, v5
	s_nop 1
	v_mov_b32_dpp v26, v5 row_shr:2 row_mask:0xf bank_mask:0xf
	v_cndmask_b32_e64 v26, 0, v26, s[12:13]
	v_add_u32_e32 v5, v5, v26
	;; [unrolled: 4-line block ×4, first 2 shown]
	s_nop 1
	v_mov_b32_dpp v26, v5 row_bcast:15 row_mask:0xf bank_mask:0xf
	v_cndmask_b32_e64 v26, v26, 0, s[6:7]
	v_add_u32_e32 v5, v5, v26
	s_nop 1
	v_mov_b32_dpp v26, v5 row_bcast:31 row_mask:0xf bank_mask:0xf
	v_cndmask_b32_e64 v26, 0, v26, s[4:5]
	v_add_u32_e32 v5, v5, v26
	s_and_saveexec_b64 s[22:23], s[2:3]
	s_cbranch_execz .LBB18_33
; %bb.32:                               ;   in Loop: Header=BB18_3 Depth=1
	ds_write_b32 v21, v5 offset:1184
.LBB18_33:                              ;   in Loop: Header=BB18_3 Depth=1
	s_or_b64 exec, exec, s[22:23]
	ds_bpermute_b32 v5, v16, v5
	s_waitcnt lgkmcnt(0)
	; wave barrier
	s_waitcnt lgkmcnt(0)
	ds_read_b32 v26, v21 offset:1184
	s_add_i32 s26, s26, 4
	v_cndmask_b32_e64 v5, v5, 0, s[0:1]
	s_cmp_ge_u32 s26, s27
	s_waitcnt lgkmcnt(0)
	v_lshl_add_u32 v26, v26, 16, v5
	v_add_u32_e32 v27, v26, v6
	v_add_u32_e32 v6, v27, v7
	;; [unrolled: 1-line block ×7, first 2 shown]
	ds_write2_b64 v13, v[26:27], v[6:7] offset1:1
	ds_write2_b64 v13, v[8:9], v[2:3] offset0:2 offset1:3
	s_waitcnt lgkmcnt(0)
	; wave barrier
	s_waitcnt lgkmcnt(0)
	ds_read_u16 v2, v25
	v_lshlrev_b32_sdwa v3, v22, v24 dst_sel:DWORD dst_unused:UNUSED_PAD src0_sel:DWORD src1_sel:WORD_0
	s_waitcnt lgkmcnt(0)
	v_lshl_add_u32 v2, v2, 1, v3
	s_cbranch_scc0 .LBB18_2
; %bb.34:
                                        ; implicit-def: $vgpr3
.LBB18_35:
	s_mov_b64 s[20:21], 0
	; wave barrier
	ds_write_b16 v2, v23
	s_waitcnt lgkmcnt(0)
	; wave barrier
.LBB18_36:
	s_and_b64 vcc, exec, s[20:21]
	s_cbranch_vccz .LBB18_158
; %bb.37:
	s_and_saveexec_b64 s[20:21], s[16:17]
	s_cbranch_execz .LBB18_65
; %bb.38:
	s_movk_i32 s18, 0x103
	v_bfrev_b32_e32 v2, -4.0
	v_cmp_gt_u32_e32 vcc, s18, v0
	v_subb_co_u32_e64 v2, s[18:19], v2, v0, vcc
	s_mov_b32 s18, 0xbacf914d
	v_sub_u32_e32 v1, 0x103, v0
	v_mul_hi_u32 v2, v2, s18
	v_subb_co_u32_e64 v1, s[18:19], v1, v2, vcc
	v_lshrrev_b32_e32 v1, 1, v1
	v_add_u32_e32 v1, v1, v2
	v_lshrrev_b32_e32 v1, 5, v1
	v_addc_co_u32_e32 v1, vcc, 0, v1, vcc
	v_lshrrev_b32_e32 v2, 1, v1
	s_mov_b32 s28, 0
	v_mov_b32_e32 v6, 0
	v_add_u32_e32 v2, 1, v2
	v_cmp_lt_u32_e32 vcc, 5, v1
	s_and_saveexec_b64 s[22:23], vcc
	s_cbranch_execz .LBB18_58
; %bb.39:
	v_and_b32_e32 v3, 0xffffffc, v2
	v_lshlrev_b32_e32 v4, 2, v0
	s_mov_b64 s[24:25], 0
	v_mov_b32_e32 v5, 0
	s_branch .LBB18_41
.LBB18_40:                              ;   in Loop: Header=BB18_41 Depth=1
	s_or_b64 exec, exec, s[18:19]
	v_add_u32_e32 v3, -4, v3
	s_add_i32 s18, s28, 8
	v_cmp_eq_u32_e32 vcc, 0, v3
	s_add_i32 s28, s29, 2
	v_add_u32_e32 v4, 0x4a0, v4
	s_or_b64 s[24:25], vcc, s[24:25]
	v_mov_b32_e32 v6, s18
	s_andn2_b64 exec, exec, s[24:25]
	s_cbranch_execz .LBB18_57
.LBB18_41:                              ; =>This Inner Loop Header: Depth=1
	s_or_b32 s18, s28, 1
	v_cmp_le_u32_e32 vcc, s18, v1
	v_cmp_le_u32_e64 s[18:19], s28, v1
	s_and_saveexec_b64 s[26:27], s[18:19]
	s_cbranch_execz .LBB18_43
; %bb.42:                               ;   in Loop: Header=BB18_41 Depth=1
	ds_write_b32 v4, v5
.LBB18_43:                              ;   in Loop: Header=BB18_41 Depth=1
	s_or_b64 exec, exec, s[26:27]
	s_and_saveexec_b64 s[18:19], vcc
	s_cbranch_execz .LBB18_45
; %bb.44:                               ;   in Loop: Header=BB18_41 Depth=1
	ds_write_b32 v4, v5 offset:148
.LBB18_45:                              ;   in Loop: Header=BB18_41 Depth=1
	s_or_b64 exec, exec, s[18:19]
	s_add_i32 s29, s28, 2
	s_add_i32 s18, s28, 3
	v_cmp_le_u32_e32 vcc, s18, v1
	v_cmp_le_u32_e64 s[18:19], s29, v1
	s_and_saveexec_b64 s[26:27], s[18:19]
	s_cbranch_execz .LBB18_47
; %bb.46:                               ;   in Loop: Header=BB18_41 Depth=1
	ds_write_b32 v4, v5 offset:296
.LBB18_47:                              ;   in Loop: Header=BB18_41 Depth=1
	s_or_b64 exec, exec, s[26:27]
	s_and_saveexec_b64 s[18:19], vcc
	s_cbranch_execz .LBB18_49
; %bb.48:                               ;   in Loop: Header=BB18_41 Depth=1
	ds_write_b32 v4, v5 offset:444
.LBB18_49:                              ;   in Loop: Header=BB18_41 Depth=1
	s_or_b64 exec, exec, s[18:19]
	s_add_i32 s30, s29, 2
	s_add_i32 s29, s29, 3
	v_cmp_le_u32_e32 vcc, s29, v1
	v_cmp_le_u32_e64 s[18:19], s30, v1
	s_and_saveexec_b64 s[26:27], s[18:19]
	s_cbranch_execz .LBB18_51
; %bb.50:                               ;   in Loop: Header=BB18_41 Depth=1
	ds_write_b32 v4, v5 offset:592
.LBB18_51:                              ;   in Loop: Header=BB18_41 Depth=1
	;; [unrolled: 16-line block ×3, first 2 shown]
	s_or_b64 exec, exec, s[26:27]
	s_and_saveexec_b64 s[18:19], vcc
	s_cbranch_execz .LBB18_40
; %bb.56:                               ;   in Loop: Header=BB18_41 Depth=1
	ds_write_b32 v4, v5 offset:1036
	s_branch .LBB18_40
.LBB18_57:
	s_or_b64 exec, exec, s[24:25]
.LBB18_58:
	s_or_b64 exec, exec, s[22:23]
	v_and_b32_e32 v3, 3, v2
	v_cmp_ne_u32_e32 vcc, 0, v3
	s_and_b64 exec, exec, vcc
	s_cbranch_execz .LBB18_65
; %bb.59:
	s_movk_i32 s18, 0x94
	v_mul_lo_u32 v2, v6, s18
	v_lshl_add_u32 v2, v0, 2, v2
	v_mul_u32_u24_e32 v3, 0x94, v3
	s_mov_b64 s[22:23], 0
	v_mov_b32_e32 v4, 0
	s_branch .LBB18_61
.LBB18_60:                              ;   in Loop: Header=BB18_61 Depth=1
	s_or_b64 exec, exec, s[18:19]
	v_add_u32_e32 v3, 0xffffff6c, v3
	v_cmp_eq_u32_e32 vcc, 0, v3
	v_add_u32_e32 v6, 2, v6
	s_or_b64 s[22:23], vcc, s[22:23]
	v_add_u32_e32 v2, 0x128, v2
	s_andn2_b64 exec, exec, s[22:23]
	s_cbranch_execz .LBB18_65
.LBB18_61:                              ; =>This Inner Loop Header: Depth=1
	v_or_b32_e32 v5, 1, v6
	v_cmp_le_u32_e32 vcc, v5, v1
	v_cmp_le_u32_e64 s[18:19], v6, v1
	s_and_saveexec_b64 s[24:25], s[18:19]
	s_cbranch_execz .LBB18_63
; %bb.62:                               ;   in Loop: Header=BB18_61 Depth=1
	ds_write_b32 v2, v4
.LBB18_63:                              ;   in Loop: Header=BB18_61 Depth=1
	s_or_b64 exec, exec, s[24:25]
	s_and_saveexec_b64 s[18:19], vcc
	s_cbranch_execz .LBB18_60
; %bb.64:                               ;   in Loop: Header=BB18_61 Depth=1
	ds_write_b32 v2, v4 offset:148
	s_branch .LBB18_60
.LBB18_65:
	s_or_b64 exec, exec, s[20:21]
	s_movk_i32 s18, 0x7fff
	v_and_b32_e32 v1, 15, v17
	v_cmp_ne_u16_e32 vcc, s18, v17
	v_cndmask_b32_e32 v1, 0, v1, vcc
	v_mov_b32_e32 v2, 7
	v_mov_b32_e32 v3, 2
	v_and_b32_sdwa v2, v1, v2 dst_sel:DWORD dst_unused:UNUSED_PAD src0_sel:WORD_0 src1_sel:DWORD
	v_lshrrev_b32_sdwa v1, v3, v1 dst_sel:DWORD dst_unused:UNUSED_PAD src0_sel:DWORD src1_sel:WORD_0
	v_mad_u32_u24 v2, v2, 37, v0
	v_and_b32_e32 v1, 2, v1
	v_lshl_or_b32 v12, v2, 2, v1
	ds_read_u16 v1, v12
	s_waitcnt lgkmcnt(0)
	v_add_u16_e32 v2, 1, v1
	ds_write_b16 v12, v2
	s_waitcnt lgkmcnt(0)
	; wave barrier
	s_waitcnt lgkmcnt(0)
	ds_read2_b64 v[6:9], v13 offset1:1
	ds_read2_b64 v[2:5], v13 offset0:2 offset1:3
	s_waitcnt lgkmcnt(1)
	v_add_u32_e32 v14, v7, v6
	v_add3_u32 v14, v14, v8, v9
	s_waitcnt lgkmcnt(0)
	v_add3_u32 v14, v14, v2, v3
	v_add3_u32 v5, v14, v4, v5
	s_nop 1
	v_mov_b32_dpp v14, v5 row_shr:1 row_mask:0xf bank_mask:0xf
	v_cndmask_b32_e64 v14, v14, 0, s[14:15]
	v_add_u32_e32 v5, v14, v5
	s_nop 1
	v_mov_b32_dpp v14, v5 row_shr:2 row_mask:0xf bank_mask:0xf
	v_cndmask_b32_e64 v14, 0, v14, s[12:13]
	v_add_u32_e32 v5, v5, v14
	;; [unrolled: 4-line block ×4, first 2 shown]
	s_nop 1
	v_mov_b32_dpp v14, v5 row_bcast:15 row_mask:0xf bank_mask:0xf
	v_cndmask_b32_e64 v14, v14, 0, s[6:7]
	v_add_u32_e32 v5, v5, v14
	s_nop 1
	v_mov_b32_dpp v14, v5 row_bcast:31 row_mask:0xf bank_mask:0xf
	v_cndmask_b32_e64 v14, 0, v14, s[4:5]
	v_add_u32_e32 v5, v5, v14
	s_and_saveexec_b64 s[18:19], s[2:3]
	s_cbranch_execz .LBB18_67
; %bb.66:
	v_mov_b32_e32 v14, 0
	ds_write_b32 v14, v5 offset:1184
.LBB18_67:
	s_or_b64 exec, exec, s[18:19]
	ds_bpermute_b32 v14, v16, v5
	v_mov_b32_e32 v5, 0
	s_waitcnt lgkmcnt(0)
	; wave barrier
	s_waitcnt lgkmcnt(0)
	ds_read_b32 v18, v5 offset:1184
	v_cndmask_b32_e64 v14, v14, 0, s[0:1]
	s_waitcnt lgkmcnt(0)
	v_lshl_add_u32 v18, v18, 16, v14
	v_add_u32_e32 v19, v18, v6
	v_add_u32_e32 v6, v19, v7
	;; [unrolled: 1-line block ×7, first 2 shown]
	ds_write2_b64 v13, v[18:19], v[6:7] offset1:1
	ds_write2_b64 v13, v[8:9], v[2:3] offset0:2 offset1:3
	s_waitcnt lgkmcnt(0)
	; wave barrier
	s_waitcnt lgkmcnt(0)
	ds_read_u16 v2, v12
	v_mov_b32_e32 v3, 1
	v_lshlrev_b32_sdwa v1, v3, v1 dst_sel:DWORD dst_unused:UNUSED_PAD src0_sel:DWORD src1_sel:WORD_0
	s_waitcnt lgkmcnt(0)
	; wave barrier
	s_waitcnt lgkmcnt(0)
	v_lshl_add_u32 v1, v2, 1, v1
	ds_write_b16 v1, v17
	v_add_u32_e32 v1, v13, v15
	s_waitcnt lgkmcnt(0)
	; wave barrier
	s_waitcnt lgkmcnt(0)
	ds_read_u16 v12, v1
	s_waitcnt lgkmcnt(0)
	; wave barrier
	s_waitcnt lgkmcnt(0)
	s_and_saveexec_b64 s[20:21], s[16:17]
	s_cbranch_execz .LBB18_95
; %bb.68:
	s_movk_i32 s18, 0x103
	v_bfrev_b32_e32 v3, -4.0
	v_cmp_gt_u32_e32 vcc, s18, v0
	v_subb_co_u32_e64 v3, s[18:19], v3, v0, vcc
	s_mov_b32 s18, 0xbacf914d
	v_sub_u32_e32 v2, 0x103, v0
	v_mul_hi_u32 v3, v3, s18
	v_subb_co_u32_e64 v2, s[18:19], v2, v3, vcc
	v_lshrrev_b32_e32 v2, 1, v2
	v_add_u32_e32 v2, v2, v3
	v_lshrrev_b32_e32 v2, 5, v2
	v_addc_co_u32_e32 v2, vcc, 0, v2, vcc
	v_lshrrev_b32_e32 v3, 1, v2
	s_mov_b32 s28, 0
	v_add_u32_e32 v3, 1, v3
	v_cmp_lt_u32_e32 vcc, 5, v2
	s_and_saveexec_b64 s[22:23], vcc
	s_cbranch_execz .LBB18_88
; %bb.69:
	v_and_b32_e32 v4, 0xffffffc, v3
	v_lshlrev_b32_e32 v6, 2, v0
	s_mov_b64 s[24:25], 0
	v_mov_b32_e32 v7, 0
	s_branch .LBB18_71
.LBB18_70:                              ;   in Loop: Header=BB18_71 Depth=1
	s_or_b64 exec, exec, s[18:19]
	v_add_u32_e32 v4, -4, v4
	s_add_i32 s18, s28, 8
	v_cmp_eq_u32_e32 vcc, 0, v4
	s_add_i32 s28, s29, 2
	v_add_u32_e32 v6, 0x4a0, v6
	s_or_b64 s[24:25], vcc, s[24:25]
	v_mov_b32_e32 v5, s18
	s_andn2_b64 exec, exec, s[24:25]
	s_cbranch_execz .LBB18_87
.LBB18_71:                              ; =>This Inner Loop Header: Depth=1
	s_or_b32 s18, s28, 1
	v_cmp_le_u32_e32 vcc, s18, v2
	v_cmp_le_u32_e64 s[18:19], s28, v2
	s_and_saveexec_b64 s[26:27], s[18:19]
	s_cbranch_execz .LBB18_73
; %bb.72:                               ;   in Loop: Header=BB18_71 Depth=1
	ds_write_b32 v6, v7
.LBB18_73:                              ;   in Loop: Header=BB18_71 Depth=1
	s_or_b64 exec, exec, s[26:27]
	s_and_saveexec_b64 s[18:19], vcc
	s_cbranch_execz .LBB18_75
; %bb.74:                               ;   in Loop: Header=BB18_71 Depth=1
	ds_write_b32 v6, v7 offset:148
.LBB18_75:                              ;   in Loop: Header=BB18_71 Depth=1
	s_or_b64 exec, exec, s[18:19]
	s_add_i32 s29, s28, 2
	s_add_i32 s18, s28, 3
	v_cmp_le_u32_e32 vcc, s18, v2
	v_cmp_le_u32_e64 s[18:19], s29, v2
	s_and_saveexec_b64 s[26:27], s[18:19]
	s_cbranch_execz .LBB18_77
; %bb.76:                               ;   in Loop: Header=BB18_71 Depth=1
	ds_write_b32 v6, v7 offset:296
.LBB18_77:                              ;   in Loop: Header=BB18_71 Depth=1
	s_or_b64 exec, exec, s[26:27]
	s_and_saveexec_b64 s[18:19], vcc
	s_cbranch_execz .LBB18_79
; %bb.78:                               ;   in Loop: Header=BB18_71 Depth=1
	ds_write_b32 v6, v7 offset:444
.LBB18_79:                              ;   in Loop: Header=BB18_71 Depth=1
	s_or_b64 exec, exec, s[18:19]
	s_add_i32 s30, s29, 2
	s_add_i32 s29, s29, 3
	v_cmp_le_u32_e32 vcc, s29, v2
	v_cmp_le_u32_e64 s[18:19], s30, v2
	s_and_saveexec_b64 s[26:27], s[18:19]
	s_cbranch_execz .LBB18_81
; %bb.80:                               ;   in Loop: Header=BB18_71 Depth=1
	ds_write_b32 v6, v7 offset:592
.LBB18_81:                              ;   in Loop: Header=BB18_71 Depth=1
	;; [unrolled: 16-line block ×3, first 2 shown]
	s_or_b64 exec, exec, s[26:27]
	s_and_saveexec_b64 s[18:19], vcc
	s_cbranch_execz .LBB18_70
; %bb.86:                               ;   in Loop: Header=BB18_71 Depth=1
	ds_write_b32 v6, v7 offset:1036
	s_branch .LBB18_70
.LBB18_87:
	s_or_b64 exec, exec, s[24:25]
.LBB18_88:
	s_or_b64 exec, exec, s[22:23]
	v_and_b32_e32 v4, 3, v3
	v_cmp_ne_u32_e32 vcc, 0, v4
	s_and_b64 exec, exec, vcc
	s_cbranch_execz .LBB18_95
; %bb.89:
	s_movk_i32 s18, 0x94
	v_mul_lo_u32 v3, v5, s18
	v_lshl_add_u32 v3, v0, 2, v3
	v_mul_u32_u24_e32 v4, 0x94, v4
	s_mov_b64 s[22:23], 0
	v_mov_b32_e32 v6, 0
	s_branch .LBB18_91
.LBB18_90:                              ;   in Loop: Header=BB18_91 Depth=1
	s_or_b64 exec, exec, s[18:19]
	v_add_u32_e32 v4, 0xffffff6c, v4
	v_cmp_eq_u32_e32 vcc, 0, v4
	v_add_u32_e32 v5, 2, v5
	s_or_b64 s[22:23], vcc, s[22:23]
	v_add_u32_e32 v3, 0x128, v3
	s_andn2_b64 exec, exec, s[22:23]
	s_cbranch_execz .LBB18_95
.LBB18_91:                              ; =>This Inner Loop Header: Depth=1
	v_or_b32_e32 v7, 1, v5
	v_cmp_le_u32_e32 vcc, v7, v2
	v_cmp_le_u32_e64 s[18:19], v5, v2
	s_and_saveexec_b64 s[24:25], s[18:19]
	s_cbranch_execz .LBB18_93
; %bb.92:                               ;   in Loop: Header=BB18_91 Depth=1
	ds_write_b32 v3, v6
.LBB18_93:                              ;   in Loop: Header=BB18_91 Depth=1
	s_or_b64 exec, exec, s[24:25]
	s_and_saveexec_b64 s[18:19], vcc
	s_cbranch_execz .LBB18_90
; %bb.94:                               ;   in Loop: Header=BB18_91 Depth=1
	ds_write_b32 v3, v6 offset:148
	s_branch .LBB18_90
.LBB18_95:
	s_or_b64 exec, exec, s[20:21]
	v_lshrrev_b16_e32 v2, 4, v12
	s_movk_i32 s18, 0x7fff
	v_and_b32_e32 v2, 15, v2
	v_cmp_ne_u16_e32 vcc, s18, v12
	v_cndmask_b32_e32 v2, 0, v2, vcc
	v_mov_b32_e32 v3, 7
	v_mov_b32_e32 v4, 2
	v_and_b32_sdwa v3, v2, v3 dst_sel:DWORD dst_unused:UNUSED_PAD src0_sel:WORD_0 src1_sel:DWORD
	v_lshrrev_b32_sdwa v2, v4, v2 dst_sel:DWORD dst_unused:UNUSED_PAD src0_sel:DWORD src1_sel:WORD_0
	v_mad_u32_u24 v3, v3, 37, v0
	v_and_b32_e32 v2, 2, v2
	v_lshl_or_b32 v17, v3, 2, v2
	ds_read_u16 v14, v17
	s_waitcnt lgkmcnt(0)
	v_add_u16_e32 v2, 1, v14
	ds_write_b16 v17, v2
	s_waitcnt lgkmcnt(0)
	; wave barrier
	s_waitcnt lgkmcnt(0)
	ds_read2_b64 v[6:9], v13 offset1:1
	ds_read2_b64 v[2:5], v13 offset0:2 offset1:3
	s_waitcnt lgkmcnt(1)
	v_add_u32_e32 v18, v7, v6
	v_add3_u32 v18, v18, v8, v9
	s_waitcnt lgkmcnt(0)
	v_add3_u32 v18, v18, v2, v3
	v_add3_u32 v5, v18, v4, v5
	s_nop 1
	v_mov_b32_dpp v18, v5 row_shr:1 row_mask:0xf bank_mask:0xf
	v_cndmask_b32_e64 v18, v18, 0, s[14:15]
	v_add_u32_e32 v5, v18, v5
	s_nop 1
	v_mov_b32_dpp v18, v5 row_shr:2 row_mask:0xf bank_mask:0xf
	v_cndmask_b32_e64 v18, 0, v18, s[12:13]
	v_add_u32_e32 v5, v5, v18
	;; [unrolled: 4-line block ×4, first 2 shown]
	s_nop 1
	v_mov_b32_dpp v18, v5 row_bcast:15 row_mask:0xf bank_mask:0xf
	v_cndmask_b32_e64 v18, v18, 0, s[6:7]
	v_add_u32_e32 v5, v5, v18
	s_nop 1
	v_mov_b32_dpp v18, v5 row_bcast:31 row_mask:0xf bank_mask:0xf
	v_cndmask_b32_e64 v18, 0, v18, s[4:5]
	v_add_u32_e32 v5, v5, v18
	s_and_saveexec_b64 s[18:19], s[2:3]
	s_cbranch_execz .LBB18_97
; %bb.96:
	v_mov_b32_e32 v18, 0
	ds_write_b32 v18, v5 offset:1184
.LBB18_97:
	s_or_b64 exec, exec, s[18:19]
	ds_bpermute_b32 v18, v16, v5
	v_mov_b32_e32 v5, 0
	s_waitcnt lgkmcnt(0)
	; wave barrier
	s_waitcnt lgkmcnt(0)
	ds_read_b32 v19, v5 offset:1184
	v_cndmask_b32_e64 v18, v18, 0, s[0:1]
	s_waitcnt lgkmcnt(0)
	v_lshl_add_u32 v18, v19, 16, v18
	v_add_u32_e32 v19, v18, v6
	v_add_u32_e32 v6, v19, v7
	v_add_u32_e32 v7, v6, v8
	v_add_u32_e32 v8, v7, v9
	v_add_u32_e32 v9, v8, v2
	v_add_u32_e32 v2, v9, v3
	v_add_u32_e32 v3, v2, v4
	ds_write2_b64 v13, v[18:19], v[6:7] offset1:1
	ds_write2_b64 v13, v[8:9], v[2:3] offset0:2 offset1:3
	s_waitcnt lgkmcnt(0)
	; wave barrier
	s_waitcnt lgkmcnt(0)
	ds_read_u16 v2, v17
	v_mov_b32_e32 v3, 1
	v_lshlrev_b32_sdwa v3, v3, v14 dst_sel:DWORD dst_unused:UNUSED_PAD src0_sel:DWORD src1_sel:WORD_0
	s_waitcnt lgkmcnt(0)
	; wave barrier
	s_waitcnt lgkmcnt(0)
	v_lshl_add_u32 v2, v2, 1, v3
	ds_write_b16 v2, v12
	s_waitcnt lgkmcnt(0)
	; wave barrier
	s_waitcnt lgkmcnt(0)
	ds_read_u16 v12, v1
	s_waitcnt lgkmcnt(0)
	; wave barrier
	s_waitcnt lgkmcnt(0)
	s_and_saveexec_b64 s[20:21], s[16:17]
	s_cbranch_execz .LBB18_125
; %bb.98:
	s_movk_i32 s18, 0x103
	v_bfrev_b32_e32 v3, -4.0
	v_cmp_gt_u32_e32 vcc, s18, v0
	v_subb_co_u32_e64 v3, s[18:19], v3, v0, vcc
	s_mov_b32 s18, 0xbacf914d
	v_sub_u32_e32 v2, 0x103, v0
	v_mul_hi_u32 v3, v3, s18
	v_subb_co_u32_e64 v2, s[18:19], v2, v3, vcc
	v_lshrrev_b32_e32 v2, 1, v2
	v_add_u32_e32 v2, v2, v3
	v_lshrrev_b32_e32 v2, 5, v2
	v_addc_co_u32_e32 v2, vcc, 0, v2, vcc
	v_lshrrev_b32_e32 v3, 1, v2
	s_mov_b32 s28, 0
	v_add_u32_e32 v3, 1, v3
	v_cmp_lt_u32_e32 vcc, 5, v2
	s_and_saveexec_b64 s[22:23], vcc
	s_cbranch_execz .LBB18_118
; %bb.99:
	v_and_b32_e32 v4, 0xffffffc, v3
	v_lshlrev_b32_e32 v6, 2, v0
	s_mov_b64 s[24:25], 0
	v_mov_b32_e32 v7, 0
	s_branch .LBB18_101
.LBB18_100:                             ;   in Loop: Header=BB18_101 Depth=1
	s_or_b64 exec, exec, s[18:19]
	v_add_u32_e32 v4, -4, v4
	s_add_i32 s18, s28, 8
	v_cmp_eq_u32_e32 vcc, 0, v4
	s_add_i32 s28, s29, 2
	v_add_u32_e32 v6, 0x4a0, v6
	s_or_b64 s[24:25], vcc, s[24:25]
	v_mov_b32_e32 v5, s18
	s_andn2_b64 exec, exec, s[24:25]
	s_cbranch_execz .LBB18_117
.LBB18_101:                             ; =>This Inner Loop Header: Depth=1
	s_or_b32 s18, s28, 1
	v_cmp_le_u32_e32 vcc, s18, v2
	v_cmp_le_u32_e64 s[18:19], s28, v2
	s_and_saveexec_b64 s[26:27], s[18:19]
	s_cbranch_execz .LBB18_103
; %bb.102:                              ;   in Loop: Header=BB18_101 Depth=1
	ds_write_b32 v6, v7
.LBB18_103:                             ;   in Loop: Header=BB18_101 Depth=1
	s_or_b64 exec, exec, s[26:27]
	s_and_saveexec_b64 s[18:19], vcc
	s_cbranch_execz .LBB18_105
; %bb.104:                              ;   in Loop: Header=BB18_101 Depth=1
	ds_write_b32 v6, v7 offset:148
.LBB18_105:                             ;   in Loop: Header=BB18_101 Depth=1
	s_or_b64 exec, exec, s[18:19]
	s_add_i32 s29, s28, 2
	s_add_i32 s18, s28, 3
	v_cmp_le_u32_e32 vcc, s18, v2
	v_cmp_le_u32_e64 s[18:19], s29, v2
	s_and_saveexec_b64 s[26:27], s[18:19]
	s_cbranch_execz .LBB18_107
; %bb.106:                              ;   in Loop: Header=BB18_101 Depth=1
	ds_write_b32 v6, v7 offset:296
.LBB18_107:                             ;   in Loop: Header=BB18_101 Depth=1
	s_or_b64 exec, exec, s[26:27]
	s_and_saveexec_b64 s[18:19], vcc
	s_cbranch_execz .LBB18_109
; %bb.108:                              ;   in Loop: Header=BB18_101 Depth=1
	ds_write_b32 v6, v7 offset:444
.LBB18_109:                             ;   in Loop: Header=BB18_101 Depth=1
	s_or_b64 exec, exec, s[18:19]
	s_add_i32 s30, s29, 2
	s_add_i32 s29, s29, 3
	v_cmp_le_u32_e32 vcc, s29, v2
	v_cmp_le_u32_e64 s[18:19], s30, v2
	s_and_saveexec_b64 s[26:27], s[18:19]
	s_cbranch_execz .LBB18_111
; %bb.110:                              ;   in Loop: Header=BB18_101 Depth=1
	ds_write_b32 v6, v7 offset:592
.LBB18_111:                             ;   in Loop: Header=BB18_101 Depth=1
	;; [unrolled: 16-line block ×3, first 2 shown]
	s_or_b64 exec, exec, s[26:27]
	s_and_saveexec_b64 s[18:19], vcc
	s_cbranch_execz .LBB18_100
; %bb.116:                              ;   in Loop: Header=BB18_101 Depth=1
	ds_write_b32 v6, v7 offset:1036
	s_branch .LBB18_100
.LBB18_117:
	s_or_b64 exec, exec, s[24:25]
.LBB18_118:
	s_or_b64 exec, exec, s[22:23]
	v_and_b32_e32 v4, 3, v3
	v_cmp_ne_u32_e32 vcc, 0, v4
	s_and_b64 exec, exec, vcc
	s_cbranch_execz .LBB18_125
; %bb.119:
	s_movk_i32 s18, 0x94
	v_mul_lo_u32 v3, v5, s18
	v_lshl_add_u32 v3, v0, 2, v3
	v_mul_u32_u24_e32 v4, 0x94, v4
	s_mov_b64 s[22:23], 0
	v_mov_b32_e32 v6, 0
	s_branch .LBB18_121
.LBB18_120:                             ;   in Loop: Header=BB18_121 Depth=1
	s_or_b64 exec, exec, s[18:19]
	v_add_u32_e32 v4, 0xffffff6c, v4
	v_cmp_eq_u32_e32 vcc, 0, v4
	v_add_u32_e32 v5, 2, v5
	s_or_b64 s[22:23], vcc, s[22:23]
	v_add_u32_e32 v3, 0x128, v3
	s_andn2_b64 exec, exec, s[22:23]
	s_cbranch_execz .LBB18_125
.LBB18_121:                             ; =>This Inner Loop Header: Depth=1
	v_or_b32_e32 v7, 1, v5
	v_cmp_le_u32_e32 vcc, v7, v2
	v_cmp_le_u32_e64 s[18:19], v5, v2
	s_and_saveexec_b64 s[24:25], s[18:19]
	s_cbranch_execz .LBB18_123
; %bb.122:                              ;   in Loop: Header=BB18_121 Depth=1
	ds_write_b32 v3, v6
.LBB18_123:                             ;   in Loop: Header=BB18_121 Depth=1
	s_or_b64 exec, exec, s[24:25]
	s_and_saveexec_b64 s[18:19], vcc
	s_cbranch_execz .LBB18_120
; %bb.124:                              ;   in Loop: Header=BB18_121 Depth=1
	ds_write_b32 v3, v6 offset:148
	s_branch .LBB18_120
.LBB18_125:
	s_or_b64 exec, exec, s[20:21]
	v_mov_b32_e32 v2, 15
	s_movk_i32 s18, 0x7fff
	v_and_b32_sdwa v2, v12, v2 dst_sel:DWORD dst_unused:UNUSED_PAD src0_sel:BYTE_1 src1_sel:DWORD
	v_cmp_ne_u16_e32 vcc, s18, v12
	v_cndmask_b32_e32 v2, 0, v2, vcc
	v_mov_b32_e32 v3, 7
	v_mov_b32_e32 v4, 2
	v_and_b32_sdwa v3, v2, v3 dst_sel:DWORD dst_unused:UNUSED_PAD src0_sel:WORD_0 src1_sel:DWORD
	v_lshrrev_b32_sdwa v2, v4, v2 dst_sel:DWORD dst_unused:UNUSED_PAD src0_sel:DWORD src1_sel:WORD_0
	v_mad_u32_u24 v3, v3, 37, v0
	v_and_b32_e32 v2, 2, v2
	v_lshl_or_b32 v17, v3, 2, v2
	ds_read_u16 v14, v17
	s_waitcnt lgkmcnt(0)
	v_add_u16_e32 v2, 1, v14
	ds_write_b16 v17, v2
	s_waitcnt lgkmcnt(0)
	; wave barrier
	s_waitcnt lgkmcnt(0)
	ds_read2_b64 v[6:9], v13 offset1:1
	ds_read2_b64 v[2:5], v13 offset0:2 offset1:3
	s_waitcnt lgkmcnt(1)
	v_add_u32_e32 v18, v7, v6
	v_add3_u32 v18, v18, v8, v9
	s_waitcnt lgkmcnt(0)
	v_add3_u32 v18, v18, v2, v3
	v_add3_u32 v5, v18, v4, v5
	s_nop 1
	v_mov_b32_dpp v18, v5 row_shr:1 row_mask:0xf bank_mask:0xf
	v_cndmask_b32_e64 v18, v18, 0, s[14:15]
	v_add_u32_e32 v5, v18, v5
	s_nop 1
	v_mov_b32_dpp v18, v5 row_shr:2 row_mask:0xf bank_mask:0xf
	v_cndmask_b32_e64 v18, 0, v18, s[12:13]
	v_add_u32_e32 v5, v5, v18
	;; [unrolled: 4-line block ×4, first 2 shown]
	s_nop 1
	v_mov_b32_dpp v18, v5 row_bcast:15 row_mask:0xf bank_mask:0xf
	v_cndmask_b32_e64 v18, v18, 0, s[6:7]
	v_add_u32_e32 v5, v5, v18
	s_nop 1
	v_mov_b32_dpp v18, v5 row_bcast:31 row_mask:0xf bank_mask:0xf
	v_cndmask_b32_e64 v18, 0, v18, s[4:5]
	v_add_u32_e32 v5, v5, v18
	s_and_saveexec_b64 s[18:19], s[2:3]
	s_cbranch_execz .LBB18_127
; %bb.126:
	v_mov_b32_e32 v18, 0
	ds_write_b32 v18, v5 offset:1184
.LBB18_127:
	s_or_b64 exec, exec, s[18:19]
	ds_bpermute_b32 v18, v16, v5
	v_mov_b32_e32 v5, 0
	s_waitcnt lgkmcnt(0)
	; wave barrier
	s_waitcnt lgkmcnt(0)
	ds_read_b32 v19, v5 offset:1184
	v_cndmask_b32_e64 v18, v18, 0, s[0:1]
	s_waitcnt lgkmcnt(0)
	v_lshl_add_u32 v18, v19, 16, v18
	v_add_u32_e32 v19, v18, v6
	v_add_u32_e32 v6, v19, v7
	v_add_u32_e32 v7, v6, v8
	v_add_u32_e32 v8, v7, v9
	v_add_u32_e32 v9, v8, v2
	v_add_u32_e32 v2, v9, v3
	v_add_u32_e32 v3, v2, v4
	ds_write2_b64 v13, v[18:19], v[6:7] offset1:1
	ds_write2_b64 v13, v[8:9], v[2:3] offset0:2 offset1:3
	s_waitcnt lgkmcnt(0)
	; wave barrier
	s_waitcnt lgkmcnt(0)
	ds_read_u16 v2, v17
	v_mov_b32_e32 v3, 1
	v_lshlrev_b32_sdwa v3, v3, v14 dst_sel:DWORD dst_unused:UNUSED_PAD src0_sel:DWORD src1_sel:WORD_0
	s_waitcnt lgkmcnt(0)
	; wave barrier
	s_waitcnt lgkmcnt(0)
	v_lshl_add_u32 v2, v2, 1, v3
	ds_write_b16 v2, v12
	s_waitcnt lgkmcnt(0)
	; wave barrier
	s_waitcnt lgkmcnt(0)
	ds_read_u16 v8, v1
	s_waitcnt lgkmcnt(0)
	; wave barrier
	s_waitcnt lgkmcnt(0)
	s_and_saveexec_b64 s[18:19], s[16:17]
	s_cbranch_execz .LBB18_155
; %bb.128:
	s_movk_i32 s16, 0x103
	v_bfrev_b32_e32 v2, -4.0
	v_cmp_gt_u32_e32 vcc, s16, v0
	v_subb_co_u32_e64 v2, s[16:17], v2, v0, vcc
	s_mov_b32 s16, 0xbacf914d
	v_sub_u32_e32 v1, 0x103, v0
	v_mul_hi_u32 v2, v2, s16
	v_subb_co_u32_e64 v1, s[16:17], v1, v2, vcc
	v_lshrrev_b32_e32 v1, 1, v1
	v_add_u32_e32 v1, v1, v2
	v_lshrrev_b32_e32 v1, 5, v1
	v_addc_co_u32_e32 v1, vcc, 0, v1, vcc
	v_lshrrev_b32_e32 v2, 1, v1
	s_mov_b32 s26, 0
	v_add_u32_e32 v2, 1, v2
	v_cmp_lt_u32_e32 vcc, 5, v1
	s_and_saveexec_b64 s[20:21], vcc
	s_cbranch_execz .LBB18_148
; %bb.129:
	v_and_b32_e32 v3, 0xffffffc, v2
	v_lshlrev_b32_e32 v4, 2, v0
	s_mov_b64 s[22:23], 0
	v_mov_b32_e32 v6, 0
	s_branch .LBB18_131
.LBB18_130:                             ;   in Loop: Header=BB18_131 Depth=1
	s_or_b64 exec, exec, s[16:17]
	v_add_u32_e32 v3, -4, v3
	s_add_i32 s16, s26, 8
	v_cmp_eq_u32_e32 vcc, 0, v3
	s_add_i32 s26, s27, 2
	v_add_u32_e32 v4, 0x4a0, v4
	s_or_b64 s[22:23], vcc, s[22:23]
	v_mov_b32_e32 v5, s16
	s_andn2_b64 exec, exec, s[22:23]
	s_cbranch_execz .LBB18_147
.LBB18_131:                             ; =>This Inner Loop Header: Depth=1
	s_or_b32 s16, s26, 1
	v_cmp_le_u32_e32 vcc, s16, v1
	v_cmp_le_u32_e64 s[16:17], s26, v1
	s_and_saveexec_b64 s[24:25], s[16:17]
	s_cbranch_execz .LBB18_133
; %bb.132:                              ;   in Loop: Header=BB18_131 Depth=1
	ds_write_b32 v4, v6
.LBB18_133:                             ;   in Loop: Header=BB18_131 Depth=1
	s_or_b64 exec, exec, s[24:25]
	s_and_saveexec_b64 s[16:17], vcc
	s_cbranch_execz .LBB18_135
; %bb.134:                              ;   in Loop: Header=BB18_131 Depth=1
	ds_write_b32 v4, v6 offset:148
.LBB18_135:                             ;   in Loop: Header=BB18_131 Depth=1
	s_or_b64 exec, exec, s[16:17]
	s_add_i32 s27, s26, 2
	s_add_i32 s16, s26, 3
	v_cmp_le_u32_e32 vcc, s16, v1
	v_cmp_le_u32_e64 s[16:17], s27, v1
	s_and_saveexec_b64 s[24:25], s[16:17]
	s_cbranch_execz .LBB18_137
; %bb.136:                              ;   in Loop: Header=BB18_131 Depth=1
	ds_write_b32 v4, v6 offset:296
.LBB18_137:                             ;   in Loop: Header=BB18_131 Depth=1
	s_or_b64 exec, exec, s[24:25]
	s_and_saveexec_b64 s[16:17], vcc
	s_cbranch_execz .LBB18_139
; %bb.138:                              ;   in Loop: Header=BB18_131 Depth=1
	ds_write_b32 v4, v6 offset:444
.LBB18_139:                             ;   in Loop: Header=BB18_131 Depth=1
	s_or_b64 exec, exec, s[16:17]
	s_add_i32 s28, s27, 2
	s_add_i32 s27, s27, 3
	v_cmp_le_u32_e32 vcc, s27, v1
	v_cmp_le_u32_e64 s[16:17], s28, v1
	s_and_saveexec_b64 s[24:25], s[16:17]
	s_cbranch_execz .LBB18_141
; %bb.140:                              ;   in Loop: Header=BB18_131 Depth=1
	ds_write_b32 v4, v6 offset:592
.LBB18_141:                             ;   in Loop: Header=BB18_131 Depth=1
	;; [unrolled: 16-line block ×3, first 2 shown]
	s_or_b64 exec, exec, s[24:25]
	s_and_saveexec_b64 s[16:17], vcc
	s_cbranch_execz .LBB18_130
; %bb.146:                              ;   in Loop: Header=BB18_131 Depth=1
	ds_write_b32 v4, v6 offset:1036
	s_branch .LBB18_130
.LBB18_147:
	s_or_b64 exec, exec, s[22:23]
.LBB18_148:
	s_or_b64 exec, exec, s[20:21]
	v_and_b32_e32 v3, 3, v2
	v_cmp_ne_u32_e32 vcc, 0, v3
	s_and_b64 exec, exec, vcc
	s_cbranch_execz .LBB18_155
; %bb.149:
	s_movk_i32 s16, 0x94
	v_mul_lo_u32 v2, v5, s16
	v_lshl_add_u32 v2, v0, 2, v2
	v_mul_u32_u24_e32 v3, 0x94, v3
	s_mov_b64 s[20:21], 0
	v_mov_b32_e32 v4, 0
	s_branch .LBB18_151
.LBB18_150:                             ;   in Loop: Header=BB18_151 Depth=1
	s_or_b64 exec, exec, s[16:17]
	v_add_u32_e32 v3, 0xffffff6c, v3
	v_cmp_eq_u32_e32 vcc, 0, v3
	v_add_u32_e32 v5, 2, v5
	s_or_b64 s[20:21], vcc, s[20:21]
	v_add_u32_e32 v2, 0x128, v2
	s_andn2_b64 exec, exec, s[20:21]
	s_cbranch_execz .LBB18_155
.LBB18_151:                             ; =>This Inner Loop Header: Depth=1
	v_or_b32_e32 v6, 1, v5
	v_cmp_le_u32_e32 vcc, v6, v1
	v_cmp_le_u32_e64 s[16:17], v5, v1
	s_and_saveexec_b64 s[22:23], s[16:17]
	s_cbranch_execz .LBB18_153
; %bb.152:                              ;   in Loop: Header=BB18_151 Depth=1
	ds_write_b32 v2, v4
.LBB18_153:                             ;   in Loop: Header=BB18_151 Depth=1
	s_or_b64 exec, exec, s[22:23]
	s_and_saveexec_b64 s[16:17], vcc
	s_cbranch_execz .LBB18_150
; %bb.154:                              ;   in Loop: Header=BB18_151 Depth=1
	ds_write_b32 v2, v4 offset:148
	s_branch .LBB18_150
.LBB18_155:
	s_or_b64 exec, exec, s[18:19]
	s_movk_i32 s16, 0x7fff
	v_lshrrev_b16_e32 v1, 12, v8
	v_cmp_ne_u16_e32 vcc, s16, v8
	v_cndmask_b32_e32 v1, 8, v1, vcc
	v_mov_b32_e32 v2, 7
	v_and_b32_sdwa v2, v1, v2 dst_sel:DWORD dst_unused:UNUSED_PAD src0_sel:WORD_0 src1_sel:DWORD
	v_mad_u32_u24 v0, v2, 37, v0
	v_mov_b32_e32 v2, 2
	v_lshrrev_b32_sdwa v1, v2, v1 dst_sel:DWORD dst_unused:UNUSED_PAD src0_sel:DWORD src1_sel:WORD_0
	v_and_b32_e32 v1, 2, v1
	v_lshl_or_b32 v12, v0, 2, v1
	ds_read_u16 v9, v12
	s_waitcnt lgkmcnt(0)
	v_add_u16_e32 v0, 1, v9
	ds_write_b16 v12, v0
	s_waitcnt lgkmcnt(0)
	; wave barrier
	s_waitcnt lgkmcnt(0)
	ds_read2_b64 v[4:7], v13 offset1:1
	ds_read2_b64 v[0:3], v13 offset0:2 offset1:3
	s_waitcnt lgkmcnt(1)
	v_add_u32_e32 v14, v5, v4
	v_add3_u32 v14, v14, v6, v7
	s_waitcnt lgkmcnt(0)
	v_add3_u32 v14, v14, v0, v1
	v_add3_u32 v3, v14, v2, v3
	s_nop 1
	v_mov_b32_dpp v14, v3 row_shr:1 row_mask:0xf bank_mask:0xf
	v_cndmask_b32_e64 v14, v14, 0, s[14:15]
	v_add_u32_e32 v3, v14, v3
	s_nop 1
	v_mov_b32_dpp v14, v3 row_shr:2 row_mask:0xf bank_mask:0xf
	v_cndmask_b32_e64 v14, 0, v14, s[12:13]
	v_add_u32_e32 v3, v3, v14
	;; [unrolled: 4-line block ×4, first 2 shown]
	s_nop 1
	v_mov_b32_dpp v14, v3 row_bcast:15 row_mask:0xf bank_mask:0xf
	v_cndmask_b32_e64 v14, v14, 0, s[6:7]
	v_add_u32_e32 v3, v3, v14
	s_nop 1
	v_mov_b32_dpp v14, v3 row_bcast:31 row_mask:0xf bank_mask:0xf
	v_cndmask_b32_e64 v14, 0, v14, s[4:5]
	v_add_u32_e32 v3, v3, v14
	s_and_saveexec_b64 s[4:5], s[2:3]
	s_cbranch_execz .LBB18_157
; %bb.156:
	v_mov_b32_e32 v14, 0
	ds_write_b32 v14, v3 offset:1184
.LBB18_157:
	s_or_b64 exec, exec, s[4:5]
	ds_bpermute_b32 v3, v16, v3
	v_mov_b32_e32 v14, 0
	s_waitcnt lgkmcnt(0)
	; wave barrier
	s_waitcnt lgkmcnt(0)
	ds_read_b32 v14, v14 offset:1184
	v_cndmask_b32_e64 v3, v3, 0, s[0:1]
	s_waitcnt lgkmcnt(0)
	v_lshl_add_u32 v16, v14, 16, v3
	v_add_u32_e32 v17, v16, v4
	v_add_u32_e32 v4, v17, v5
	;; [unrolled: 1-line block ×7, first 2 shown]
	ds_write2_b64 v13, v[16:17], v[4:5] offset1:1
	ds_write2_b64 v13, v[6:7], v[0:1] offset0:2 offset1:3
	s_waitcnt lgkmcnt(0)
	; wave barrier
	s_waitcnt lgkmcnt(0)
	ds_read_u16 v0, v12
	v_mov_b32_e32 v1, 1
	v_lshlrev_b32_sdwa v1, v1, v9 dst_sel:DWORD dst_unused:UNUSED_PAD src0_sel:DWORD src1_sel:WORD_0
	s_waitcnt lgkmcnt(0)
	; wave barrier
	s_waitcnt lgkmcnt(0)
	v_lshl_add_u32 v0, v0, 1, v1
	ds_write_b16 v0, v8
	s_waitcnt lgkmcnt(0)
	; wave barrier
.LBB18_158:
	v_add_u32_e32 v0, v13, v15
	s_waitcnt lgkmcnt(0)
	ds_read_u16 v0, v0
	v_mov_b32_e32 v1, 0xffff8000
	s_waitcnt lgkmcnt(0)
	v_cmp_lt_i16_e32 vcc, -1, v0
	v_cndmask_b32_e64 v1, v1, -1, vcc
	v_xor_b32_e32 v0, v1, v0
	global_store_short v[10:11], v0, off
	s_endpgm
	.section	.rodata,"a",@progbits
	.p2align	6, 0x0
	.amdhsa_kernel _Z15sort_key_kernelILj37ELj1ELb0ELb0E6__halfEvPT3_jj
		.amdhsa_group_segment_fixed_size 1200
		.amdhsa_private_segment_fixed_size 0
		.amdhsa_kernarg_size 16
		.amdhsa_user_sgpr_count 6
		.amdhsa_user_sgpr_private_segment_buffer 1
		.amdhsa_user_sgpr_dispatch_ptr 0
		.amdhsa_user_sgpr_queue_ptr 0
		.amdhsa_user_sgpr_kernarg_segment_ptr 1
		.amdhsa_user_sgpr_dispatch_id 0
		.amdhsa_user_sgpr_flat_scratch_init 0
		.amdhsa_user_sgpr_kernarg_preload_length 0
		.amdhsa_user_sgpr_kernarg_preload_offset 0
		.amdhsa_user_sgpr_private_segment_size 0
		.amdhsa_uses_dynamic_stack 0
		.amdhsa_system_sgpr_private_segment_wavefront_offset 0
		.amdhsa_system_sgpr_workgroup_id_x 1
		.amdhsa_system_sgpr_workgroup_id_y 0
		.amdhsa_system_sgpr_workgroup_id_z 0
		.amdhsa_system_sgpr_workgroup_info 0
		.amdhsa_system_vgpr_workitem_id 0
		.amdhsa_next_free_vgpr 28
		.amdhsa_next_free_sgpr 40
		.amdhsa_accum_offset 28
		.amdhsa_reserve_vcc 1
		.amdhsa_reserve_flat_scratch 0
		.amdhsa_float_round_mode_32 0
		.amdhsa_float_round_mode_16_64 0
		.amdhsa_float_denorm_mode_32 3
		.amdhsa_float_denorm_mode_16_64 3
		.amdhsa_dx10_clamp 1
		.amdhsa_ieee_mode 1
		.amdhsa_fp16_overflow 0
		.amdhsa_tg_split 0
		.amdhsa_exception_fp_ieee_invalid_op 0
		.amdhsa_exception_fp_denorm_src 0
		.amdhsa_exception_fp_ieee_div_zero 0
		.amdhsa_exception_fp_ieee_overflow 0
		.amdhsa_exception_fp_ieee_underflow 0
		.amdhsa_exception_fp_ieee_inexact 0
		.amdhsa_exception_int_div_zero 0
	.end_amdhsa_kernel
	.section	.text._Z15sort_key_kernelILj37ELj1ELb0ELb0E6__halfEvPT3_jj,"axG",@progbits,_Z15sort_key_kernelILj37ELj1ELb0ELb0E6__halfEvPT3_jj,comdat
.Lfunc_end18:
	.size	_Z15sort_key_kernelILj37ELj1ELb0ELb0E6__halfEvPT3_jj, .Lfunc_end18-_Z15sort_key_kernelILj37ELj1ELb0ELb0E6__halfEvPT3_jj
                                        ; -- End function
	.section	.AMDGPU.csdata,"",@progbits
; Kernel info:
; codeLenInByte = 5612
; NumSgprs: 44
; NumVgprs: 28
; NumAgprs: 0
; TotalNumVgprs: 28
; ScratchSize: 0
; MemoryBound: 0
; FloatMode: 240
; IeeeMode: 1
; LDSByteSize: 1200 bytes/workgroup (compile time only)
; SGPRBlocks: 5
; VGPRBlocks: 3
; NumSGPRsForWavesPerEU: 44
; NumVGPRsForWavesPerEU: 28
; AccumOffset: 28
; Occupancy: 8
; WaveLimiterHint : 0
; COMPUTE_PGM_RSRC2:SCRATCH_EN: 0
; COMPUTE_PGM_RSRC2:USER_SGPR: 6
; COMPUTE_PGM_RSRC2:TRAP_HANDLER: 0
; COMPUTE_PGM_RSRC2:TGID_X_EN: 1
; COMPUTE_PGM_RSRC2:TGID_Y_EN: 0
; COMPUTE_PGM_RSRC2:TGID_Z_EN: 0
; COMPUTE_PGM_RSRC2:TIDIG_COMP_CNT: 0
; COMPUTE_PGM_RSRC3_GFX90A:ACCUM_OFFSET: 6
; COMPUTE_PGM_RSRC3_GFX90A:TG_SPLIT: 0
	.section	.text._Z15sort_key_kernelILj37ELj1ELb0ELb0E12hip_bfloat16EvPT3_jj,"axG",@progbits,_Z15sort_key_kernelILj37ELj1ELb0ELb0E12hip_bfloat16EvPT3_jj,comdat
	.protected	_Z15sort_key_kernelILj37ELj1ELb0ELb0E12hip_bfloat16EvPT3_jj ; -- Begin function _Z15sort_key_kernelILj37ELj1ELb0ELb0E12hip_bfloat16EvPT3_jj
	.globl	_Z15sort_key_kernelILj37ELj1ELb0ELb0E12hip_bfloat16EvPT3_jj
	.p2align	8
	.type	_Z15sort_key_kernelILj37ELj1ELb0ELb0E12hip_bfloat16EvPT3_jj,@function
_Z15sort_key_kernelILj37ELj1ELb0ELb0E12hip_bfloat16EvPT3_jj: ; @_Z15sort_key_kernelILj37ELj1ELb0ELb0E12hip_bfloat16EvPT3_jj
; %bb.0:
	s_load_dwordx4 s[24:27], s[4:5], 0x0
	s_mul_i32 s0, s6, 37
	s_mov_b32 s1, 0
	s_lshl_b64 s[0:1], s[0:1], 1
	v_lshlrev_b32_e32 v1, 1, v0
	s_waitcnt lgkmcnt(0)
	s_add_u32 s18, s24, s0
	s_addc_u32 s19, s25, s1
	global_load_ushort v2, v1, s[18:19]
	v_mbcnt_lo_u32_b32 v3, -1, 0
	v_mbcnt_hi_u32_b32 v3, -1, v3
	v_add_u32_e32 v6, -1, v3
	v_and_b32_e32 v7, 64, v3
	s_movk_i32 s0, 0x128
	v_cmp_lt_i32_e32 vcc, v6, v7
	v_cmp_gt_u32_e64 s[16:17], s0, v0
	v_and_b32_e32 v4, 15, v3
	v_and_b32_e32 v5, 16, v3
	v_cmp_lt_u32_e64 s[4:5], 31, v3
	v_cmp_eq_u32_e64 s[0:1], 0, v3
	v_cndmask_b32_e32 v3, v6, v3, vcc
	s_cmp_eq_u32 s26, 0
	v_lshlrev_b32_e32 v16, 2, v3
	v_mov_b32_e32 v3, s19
	v_add_co_u32_e32 v10, vcc, s18, v1
	s_cselect_b64 s[18:19], -1, 0
	s_cmp_eq_u32 s27, 16
	s_cselect_b64 s[22:23], -1, 0
	v_addc_co_u32_e32 v11, vcc, 0, v3, vcc
	s_and_b64 s[18:19], s[18:19], s[22:23]
	v_mov_b32_e32 v18, 0xffff8000
	s_and_b64 vcc, exec, s[18:19]
	s_mov_b64 s[20:21], -1
	v_lshlrev_b32_e32 v13, 5, v0
	v_cmp_eq_u32_e64 s[2:3], 36, v0
	v_mul_i32_i24_e32 v15, 0xffffffe2, v0
	v_cmp_eq_u32_e64 s[14:15], 0, v4
	v_cmp_lt_u32_e64 s[12:13], 1, v4
	v_cmp_lt_u32_e64 s[10:11], 3, v4
	;; [unrolled: 1-line block ×3, first 2 shown]
	v_cmp_eq_u32_e64 s[6:7], 0, v5
	s_waitcnt vmcnt(0)
	v_cmp_lt_i16_e64 s[18:19], -1, v2
	v_cndmask_b32_e64 v1, -1, v18, s[18:19]
	v_xor_b32_e32 v17, v1, v2
	s_cbranch_vccnz .LBB19_36
; %bb.1:
	s_movk_i32 s18, 0x103
	v_bfrev_b32_e32 v2, -4.0
	v_cmp_gt_u32_e32 vcc, s18, v0
	v_subb_co_u32_e64 v2, s[18:19], v2, v0, vcc
	s_mov_b32 s18, 0xbacf914d
	v_sub_u32_e32 v1, 0x103, v0
	v_mul_hi_u32 v2, v2, s18
	v_subb_co_u32_e64 v1, s[18:19], v1, v2, vcc
	v_lshrrev_b32_e32 v1, 1, v1
	v_add_u32_e32 v1, v1, v2
	v_lshrrev_b32_e32 v1, 5, v1
	v_addc_co_u32_e32 v12, vcc, 0, v1, vcc
	v_lshrrev_b32_e32 v1, 1, v12
	v_add_u32_e32 v2, 1, v1
	v_and_b32_e32 v3, 3, v2
	v_mov_b32_e32 v1, v12
	v_cmp_lt_u32_e64 s[18:19], 5, v12
	v_and_b32_e32 v19, 0xffffffc, v2
	v_cmp_ne_u32_e64 s[20:21], 0, v3
	v_lshlrev_b32_e32 v14, 2, v0
	s_movk_i32 s33, 0x94
	v_mul_u32_u24_e32 v20, 0x94, v3
	v_mov_b32_e32 v21, 0
	s_movk_i32 s36, 0x7fff
	v_mov_b32_e32 v22, 1
	v_mov_b32_e32 v3, v17
	s_branch .LBB19_3
.LBB19_2:                               ;   in Loop: Header=BB19_3 Depth=1
	v_add_u32_e32 v3, v13, v15
	; wave barrier
	ds_write_b16 v2, v23
	s_waitcnt lgkmcnt(0)
	; wave barrier
	s_waitcnt lgkmcnt(0)
	ds_read_u16 v3, v3
	s_waitcnt lgkmcnt(0)
	; wave barrier
	s_waitcnt lgkmcnt(0)
	s_cbranch_execz .LBB19_35
.LBB19_3:                               ; =>This Loop Header: Depth=1
                                        ;     Child Loop BB19_7 Depth 2
                                        ;     Child Loop BB19_27 Depth 2
	v_mov_b32_e32 v23, v3
	s_and_saveexec_b64 s[24:25], s[16:17]
	s_cbranch_execz .LBB19_31
; %bb.4:                                ;   in Loop: Header=BB19_3 Depth=1
	v_mov_b32_e32 v4, 0
	s_and_saveexec_b64 s[28:29], s[18:19]
	s_cbranch_execz .LBB19_24
; %bb.5:                                ;   in Loop: Header=BB19_3 Depth=1
	s_mov_b32 s37, 0
	s_mov_b64 s[30:31], 0
	v_mov_b32_e32 v2, v19
	v_mov_b32_e32 v3, v14
	s_branch .LBB19_7
.LBB19_6:                               ;   in Loop: Header=BB19_7 Depth=2
	s_or_b64 exec, exec, s[22:23]
	v_add_u32_e32 v2, -4, v2
	s_add_i32 s22, s37, 8
	v_cmp_eq_u32_e32 vcc, 0, v2
	s_add_i32 s37, s38, 2
	v_add_u32_e32 v3, 0x4a0, v3
	s_or_b64 s[30:31], vcc, s[30:31]
	v_mov_b32_e32 v4, s22
	s_andn2_b64 exec, exec, s[30:31]
	s_cbranch_execz .LBB19_23
.LBB19_7:                               ;   Parent Loop BB19_3 Depth=1
                                        ; =>  This Inner Loop Header: Depth=2
	s_or_b32 s22, s37, 1
	v_cmp_le_u32_e32 vcc, s22, v1
	v_cmp_le_u32_e64 s[22:23], s37, v12
	s_and_saveexec_b64 s[34:35], s[22:23]
	s_cbranch_execz .LBB19_9
; %bb.8:                                ;   in Loop: Header=BB19_7 Depth=2
	ds_write_b32 v3, v21
.LBB19_9:                               ;   in Loop: Header=BB19_7 Depth=2
	s_or_b64 exec, exec, s[34:35]
	s_and_saveexec_b64 s[22:23], vcc
	s_cbranch_execz .LBB19_11
; %bb.10:                               ;   in Loop: Header=BB19_7 Depth=2
	ds_write_b32 v3, v21 offset:148
.LBB19_11:                              ;   in Loop: Header=BB19_7 Depth=2
	s_or_b64 exec, exec, s[22:23]
	s_add_i32 s38, s37, 2
	s_add_i32 s22, s37, 3
	v_cmp_le_u32_e32 vcc, s22, v1
	v_cmp_le_u32_e64 s[22:23], s38, v12
	s_and_saveexec_b64 s[34:35], s[22:23]
	s_cbranch_execz .LBB19_13
; %bb.12:                               ;   in Loop: Header=BB19_7 Depth=2
	ds_write_b32 v3, v21 offset:296
.LBB19_13:                              ;   in Loop: Header=BB19_7 Depth=2
	s_or_b64 exec, exec, s[34:35]
	s_and_saveexec_b64 s[22:23], vcc
	s_cbranch_execz .LBB19_15
; %bb.14:                               ;   in Loop: Header=BB19_7 Depth=2
	ds_write_b32 v3, v21 offset:444
.LBB19_15:                              ;   in Loop: Header=BB19_7 Depth=2
	s_or_b64 exec, exec, s[22:23]
	s_add_i32 s39, s38, 2
	s_add_i32 s38, s38, 3
	v_cmp_le_u32_e32 vcc, s38, v1
	v_cmp_le_u32_e64 s[22:23], s39, v12
	s_and_saveexec_b64 s[34:35], s[22:23]
	s_cbranch_execz .LBB19_17
; %bb.16:                               ;   in Loop: Header=BB19_7 Depth=2
	ds_write_b32 v3, v21 offset:592
.LBB19_17:                              ;   in Loop: Header=BB19_7 Depth=2
	;; [unrolled: 16-line block ×3, first 2 shown]
	s_or_b64 exec, exec, s[34:35]
	s_and_saveexec_b64 s[22:23], vcc
	s_cbranch_execz .LBB19_6
; %bb.22:                               ;   in Loop: Header=BB19_7 Depth=2
	ds_write_b32 v3, v21 offset:1036
	s_branch .LBB19_6
.LBB19_23:                              ;   in Loop: Header=BB19_3 Depth=1
	s_or_b64 exec, exec, s[30:31]
.LBB19_24:                              ;   in Loop: Header=BB19_3 Depth=1
	s_or_b64 exec, exec, s[28:29]
	s_and_b64 exec, exec, s[20:21]
	s_cbranch_execz .LBB19_31
; %bb.25:                               ;   in Loop: Header=BB19_3 Depth=1
	v_mad_u64_u32 v[2:3], s[22:23], v4, s33, v[14:15]
	s_mov_b64 s[28:29], 0
	v_mov_b32_e32 v3, v20
	s_branch .LBB19_27
.LBB19_26:                              ;   in Loop: Header=BB19_27 Depth=2
	s_or_b64 exec, exec, s[22:23]
	v_add_u32_e32 v3, 0xffffff6c, v3
	v_cmp_eq_u32_e32 vcc, 0, v3
	v_add_u32_e32 v4, 2, v4
	s_or_b64 s[28:29], vcc, s[28:29]
	v_add_u32_e32 v2, 0x128, v2
	s_andn2_b64 exec, exec, s[28:29]
	s_cbranch_execz .LBB19_31
.LBB19_27:                              ;   Parent Loop BB19_3 Depth=1
                                        ; =>  This Inner Loop Header: Depth=2
	v_or_b32_e32 v5, 1, v4
	v_cmp_le_u32_e32 vcc, v5, v1
	v_cmp_le_u32_e64 s[22:23], v4, v12
	s_and_saveexec_b64 s[30:31], s[22:23]
	s_cbranch_execz .LBB19_29
; %bb.28:                               ;   in Loop: Header=BB19_27 Depth=2
	ds_write_b32 v2, v21
.LBB19_29:                              ;   in Loop: Header=BB19_27 Depth=2
	s_or_b64 exec, exec, s[30:31]
	s_and_saveexec_b64 s[22:23], vcc
	s_cbranch_execz .LBB19_26
; %bb.30:                               ;   in Loop: Header=BB19_27 Depth=2
	ds_write_b32 v2, v21 offset:148
	s_branch .LBB19_26
.LBB19_31:                              ;   in Loop: Header=BB19_3 Depth=1
	s_or_b64 exec, exec, s[24:25]
	v_cmp_ne_u16_e32 vcc, s36, v23
	s_sub_i32 s22, s27, s26
	v_cndmask_b32_e32 v2, v18, v23, vcc
	s_min_u32 s22, s22, 4
	v_lshrrev_b32_sdwa v2, s26, v2 dst_sel:DWORD dst_unused:UNUSED_PAD src0_sel:DWORD src1_sel:WORD_0
	v_bfe_u32 v2, v2, 0, s22
	v_and_b32_e32 v3, 7, v2
	v_mul_u32_u24_e32 v3, 37, v3
	v_lshrrev_b32_e32 v2, 3, v2
	v_add_lshl_u32 v3, v3, v0, 1
	v_add_lshl_u32 v25, v3, v2, 1
	ds_read_u16 v24, v25
	s_waitcnt lgkmcnt(0)
	v_add_u16_e32 v2, 1, v24
	ds_write_b16 v25, v2
	s_waitcnt lgkmcnt(0)
	; wave barrier
	s_waitcnt lgkmcnt(0)
	ds_read2_b64 v[6:9], v13 offset1:1
	ds_read2_b64 v[2:5], v13 offset0:2 offset1:3
	s_waitcnt lgkmcnt(1)
	v_add_u32_e32 v26, v7, v6
	v_add3_u32 v26, v26, v8, v9
	s_waitcnt lgkmcnt(0)
	v_add3_u32 v26, v26, v2, v3
	v_add3_u32 v5, v26, v4, v5
	s_nop 1
	v_mov_b32_dpp v26, v5 row_shr:1 row_mask:0xf bank_mask:0xf
	v_cndmask_b32_e64 v26, v26, 0, s[14:15]
	v_add_u32_e32 v5, v26, v5
	s_nop 1
	v_mov_b32_dpp v26, v5 row_shr:2 row_mask:0xf bank_mask:0xf
	v_cndmask_b32_e64 v26, 0, v26, s[12:13]
	v_add_u32_e32 v5, v5, v26
	;; [unrolled: 4-line block ×4, first 2 shown]
	s_nop 1
	v_mov_b32_dpp v26, v5 row_bcast:15 row_mask:0xf bank_mask:0xf
	v_cndmask_b32_e64 v26, v26, 0, s[6:7]
	v_add_u32_e32 v5, v5, v26
	s_nop 1
	v_mov_b32_dpp v26, v5 row_bcast:31 row_mask:0xf bank_mask:0xf
	v_cndmask_b32_e64 v26, 0, v26, s[4:5]
	v_add_u32_e32 v5, v5, v26
	s_and_saveexec_b64 s[22:23], s[2:3]
	s_cbranch_execz .LBB19_33
; %bb.32:                               ;   in Loop: Header=BB19_3 Depth=1
	ds_write_b32 v21, v5 offset:1184
.LBB19_33:                              ;   in Loop: Header=BB19_3 Depth=1
	s_or_b64 exec, exec, s[22:23]
	ds_bpermute_b32 v5, v16, v5
	s_waitcnt lgkmcnt(0)
	; wave barrier
	s_waitcnt lgkmcnt(0)
	ds_read_b32 v26, v21 offset:1184
	s_add_i32 s26, s26, 4
	v_cndmask_b32_e64 v5, v5, 0, s[0:1]
	s_cmp_ge_u32 s26, s27
	s_waitcnt lgkmcnt(0)
	v_lshl_add_u32 v26, v26, 16, v5
	v_add_u32_e32 v27, v26, v6
	v_add_u32_e32 v6, v27, v7
	;; [unrolled: 1-line block ×7, first 2 shown]
	ds_write2_b64 v13, v[26:27], v[6:7] offset1:1
	ds_write2_b64 v13, v[8:9], v[2:3] offset0:2 offset1:3
	s_waitcnt lgkmcnt(0)
	; wave barrier
	s_waitcnt lgkmcnt(0)
	ds_read_u16 v2, v25
	v_lshlrev_b32_sdwa v3, v22, v24 dst_sel:DWORD dst_unused:UNUSED_PAD src0_sel:DWORD src1_sel:WORD_0
	s_waitcnt lgkmcnt(0)
	v_lshl_add_u32 v2, v2, 1, v3
	s_cbranch_scc0 .LBB19_2
; %bb.34:
                                        ; implicit-def: $vgpr3
.LBB19_35:
	s_mov_b64 s[20:21], 0
	; wave barrier
	ds_write_b16 v2, v23
	s_waitcnt lgkmcnt(0)
	; wave barrier
.LBB19_36:
	s_and_b64 vcc, exec, s[20:21]
	s_cbranch_vccz .LBB19_158
; %bb.37:
	s_and_saveexec_b64 s[20:21], s[16:17]
	s_cbranch_execz .LBB19_65
; %bb.38:
	s_movk_i32 s18, 0x103
	v_bfrev_b32_e32 v2, -4.0
	v_cmp_gt_u32_e32 vcc, s18, v0
	v_subb_co_u32_e64 v2, s[18:19], v2, v0, vcc
	s_mov_b32 s18, 0xbacf914d
	v_sub_u32_e32 v1, 0x103, v0
	v_mul_hi_u32 v2, v2, s18
	v_subb_co_u32_e64 v1, s[18:19], v1, v2, vcc
	v_lshrrev_b32_e32 v1, 1, v1
	v_add_u32_e32 v1, v1, v2
	v_lshrrev_b32_e32 v1, 5, v1
	v_addc_co_u32_e32 v1, vcc, 0, v1, vcc
	v_lshrrev_b32_e32 v2, 1, v1
	s_mov_b32 s28, 0
	v_mov_b32_e32 v6, 0
	v_add_u32_e32 v2, 1, v2
	v_cmp_lt_u32_e32 vcc, 5, v1
	s_and_saveexec_b64 s[22:23], vcc
	s_cbranch_execz .LBB19_58
; %bb.39:
	v_and_b32_e32 v3, 0xffffffc, v2
	v_lshlrev_b32_e32 v4, 2, v0
	s_mov_b64 s[24:25], 0
	v_mov_b32_e32 v5, 0
	s_branch .LBB19_41
.LBB19_40:                              ;   in Loop: Header=BB19_41 Depth=1
	s_or_b64 exec, exec, s[18:19]
	v_add_u32_e32 v3, -4, v3
	s_add_i32 s18, s28, 8
	v_cmp_eq_u32_e32 vcc, 0, v3
	s_add_i32 s28, s29, 2
	v_add_u32_e32 v4, 0x4a0, v4
	s_or_b64 s[24:25], vcc, s[24:25]
	v_mov_b32_e32 v6, s18
	s_andn2_b64 exec, exec, s[24:25]
	s_cbranch_execz .LBB19_57
.LBB19_41:                              ; =>This Inner Loop Header: Depth=1
	s_or_b32 s18, s28, 1
	v_cmp_le_u32_e32 vcc, s18, v1
	v_cmp_le_u32_e64 s[18:19], s28, v1
	s_and_saveexec_b64 s[26:27], s[18:19]
	s_cbranch_execz .LBB19_43
; %bb.42:                               ;   in Loop: Header=BB19_41 Depth=1
	ds_write_b32 v4, v5
.LBB19_43:                              ;   in Loop: Header=BB19_41 Depth=1
	s_or_b64 exec, exec, s[26:27]
	s_and_saveexec_b64 s[18:19], vcc
	s_cbranch_execz .LBB19_45
; %bb.44:                               ;   in Loop: Header=BB19_41 Depth=1
	ds_write_b32 v4, v5 offset:148
.LBB19_45:                              ;   in Loop: Header=BB19_41 Depth=1
	s_or_b64 exec, exec, s[18:19]
	s_add_i32 s29, s28, 2
	s_add_i32 s18, s28, 3
	v_cmp_le_u32_e32 vcc, s18, v1
	v_cmp_le_u32_e64 s[18:19], s29, v1
	s_and_saveexec_b64 s[26:27], s[18:19]
	s_cbranch_execz .LBB19_47
; %bb.46:                               ;   in Loop: Header=BB19_41 Depth=1
	ds_write_b32 v4, v5 offset:296
.LBB19_47:                              ;   in Loop: Header=BB19_41 Depth=1
	s_or_b64 exec, exec, s[26:27]
	s_and_saveexec_b64 s[18:19], vcc
	s_cbranch_execz .LBB19_49
; %bb.48:                               ;   in Loop: Header=BB19_41 Depth=1
	ds_write_b32 v4, v5 offset:444
.LBB19_49:                              ;   in Loop: Header=BB19_41 Depth=1
	s_or_b64 exec, exec, s[18:19]
	s_add_i32 s30, s29, 2
	s_add_i32 s29, s29, 3
	v_cmp_le_u32_e32 vcc, s29, v1
	v_cmp_le_u32_e64 s[18:19], s30, v1
	s_and_saveexec_b64 s[26:27], s[18:19]
	s_cbranch_execz .LBB19_51
; %bb.50:                               ;   in Loop: Header=BB19_41 Depth=1
	ds_write_b32 v4, v5 offset:592
.LBB19_51:                              ;   in Loop: Header=BB19_41 Depth=1
	;; [unrolled: 16-line block ×3, first 2 shown]
	s_or_b64 exec, exec, s[26:27]
	s_and_saveexec_b64 s[18:19], vcc
	s_cbranch_execz .LBB19_40
; %bb.56:                               ;   in Loop: Header=BB19_41 Depth=1
	ds_write_b32 v4, v5 offset:1036
	s_branch .LBB19_40
.LBB19_57:
	s_or_b64 exec, exec, s[24:25]
.LBB19_58:
	s_or_b64 exec, exec, s[22:23]
	v_and_b32_e32 v3, 3, v2
	v_cmp_ne_u32_e32 vcc, 0, v3
	s_and_b64 exec, exec, vcc
	s_cbranch_execz .LBB19_65
; %bb.59:
	s_movk_i32 s18, 0x94
	v_mul_lo_u32 v2, v6, s18
	v_lshl_add_u32 v2, v0, 2, v2
	v_mul_u32_u24_e32 v3, 0x94, v3
	s_mov_b64 s[22:23], 0
	v_mov_b32_e32 v4, 0
	s_branch .LBB19_61
.LBB19_60:                              ;   in Loop: Header=BB19_61 Depth=1
	s_or_b64 exec, exec, s[18:19]
	v_add_u32_e32 v3, 0xffffff6c, v3
	v_cmp_eq_u32_e32 vcc, 0, v3
	v_add_u32_e32 v6, 2, v6
	s_or_b64 s[22:23], vcc, s[22:23]
	v_add_u32_e32 v2, 0x128, v2
	s_andn2_b64 exec, exec, s[22:23]
	s_cbranch_execz .LBB19_65
.LBB19_61:                              ; =>This Inner Loop Header: Depth=1
	v_or_b32_e32 v5, 1, v6
	v_cmp_le_u32_e32 vcc, v5, v1
	v_cmp_le_u32_e64 s[18:19], v6, v1
	s_and_saveexec_b64 s[24:25], s[18:19]
	s_cbranch_execz .LBB19_63
; %bb.62:                               ;   in Loop: Header=BB19_61 Depth=1
	ds_write_b32 v2, v4
.LBB19_63:                              ;   in Loop: Header=BB19_61 Depth=1
	s_or_b64 exec, exec, s[24:25]
	s_and_saveexec_b64 s[18:19], vcc
	s_cbranch_execz .LBB19_60
; %bb.64:                               ;   in Loop: Header=BB19_61 Depth=1
	ds_write_b32 v2, v4 offset:148
	s_branch .LBB19_60
.LBB19_65:
	s_or_b64 exec, exec, s[20:21]
	s_movk_i32 s18, 0x7fff
	v_and_b32_e32 v1, 15, v17
	v_cmp_ne_u16_e32 vcc, s18, v17
	v_cndmask_b32_e32 v1, 0, v1, vcc
	v_mov_b32_e32 v2, 7
	v_mov_b32_e32 v3, 2
	v_and_b32_sdwa v2, v1, v2 dst_sel:DWORD dst_unused:UNUSED_PAD src0_sel:WORD_0 src1_sel:DWORD
	v_lshrrev_b32_sdwa v1, v3, v1 dst_sel:DWORD dst_unused:UNUSED_PAD src0_sel:DWORD src1_sel:WORD_0
	v_mad_u32_u24 v2, v2, 37, v0
	v_and_b32_e32 v1, 2, v1
	v_lshl_or_b32 v12, v2, 2, v1
	ds_read_u16 v1, v12
	s_waitcnt lgkmcnt(0)
	v_add_u16_e32 v2, 1, v1
	ds_write_b16 v12, v2
	s_waitcnt lgkmcnt(0)
	; wave barrier
	s_waitcnt lgkmcnt(0)
	ds_read2_b64 v[6:9], v13 offset1:1
	ds_read2_b64 v[2:5], v13 offset0:2 offset1:3
	s_waitcnt lgkmcnt(1)
	v_add_u32_e32 v14, v7, v6
	v_add3_u32 v14, v14, v8, v9
	s_waitcnt lgkmcnt(0)
	v_add3_u32 v14, v14, v2, v3
	v_add3_u32 v5, v14, v4, v5
	s_nop 1
	v_mov_b32_dpp v14, v5 row_shr:1 row_mask:0xf bank_mask:0xf
	v_cndmask_b32_e64 v14, v14, 0, s[14:15]
	v_add_u32_e32 v5, v14, v5
	s_nop 1
	v_mov_b32_dpp v14, v5 row_shr:2 row_mask:0xf bank_mask:0xf
	v_cndmask_b32_e64 v14, 0, v14, s[12:13]
	v_add_u32_e32 v5, v5, v14
	;; [unrolled: 4-line block ×4, first 2 shown]
	s_nop 1
	v_mov_b32_dpp v14, v5 row_bcast:15 row_mask:0xf bank_mask:0xf
	v_cndmask_b32_e64 v14, v14, 0, s[6:7]
	v_add_u32_e32 v5, v5, v14
	s_nop 1
	v_mov_b32_dpp v14, v5 row_bcast:31 row_mask:0xf bank_mask:0xf
	v_cndmask_b32_e64 v14, 0, v14, s[4:5]
	v_add_u32_e32 v5, v5, v14
	s_and_saveexec_b64 s[18:19], s[2:3]
	s_cbranch_execz .LBB19_67
; %bb.66:
	v_mov_b32_e32 v14, 0
	ds_write_b32 v14, v5 offset:1184
.LBB19_67:
	s_or_b64 exec, exec, s[18:19]
	ds_bpermute_b32 v14, v16, v5
	v_mov_b32_e32 v5, 0
	s_waitcnt lgkmcnt(0)
	; wave barrier
	s_waitcnt lgkmcnt(0)
	ds_read_b32 v18, v5 offset:1184
	v_cndmask_b32_e64 v14, v14, 0, s[0:1]
	s_waitcnt lgkmcnt(0)
	v_lshl_add_u32 v18, v18, 16, v14
	v_add_u32_e32 v19, v18, v6
	v_add_u32_e32 v6, v19, v7
	v_add_u32_e32 v7, v6, v8
	v_add_u32_e32 v8, v7, v9
	v_add_u32_e32 v9, v8, v2
	v_add_u32_e32 v2, v9, v3
	v_add_u32_e32 v3, v2, v4
	ds_write2_b64 v13, v[18:19], v[6:7] offset1:1
	ds_write2_b64 v13, v[8:9], v[2:3] offset0:2 offset1:3
	s_waitcnt lgkmcnt(0)
	; wave barrier
	s_waitcnt lgkmcnt(0)
	ds_read_u16 v2, v12
	v_mov_b32_e32 v3, 1
	v_lshlrev_b32_sdwa v1, v3, v1 dst_sel:DWORD dst_unused:UNUSED_PAD src0_sel:DWORD src1_sel:WORD_0
	s_waitcnt lgkmcnt(0)
	; wave barrier
	s_waitcnt lgkmcnt(0)
	v_lshl_add_u32 v1, v2, 1, v1
	ds_write_b16 v1, v17
	v_add_u32_e32 v1, v13, v15
	s_waitcnt lgkmcnt(0)
	; wave barrier
	s_waitcnt lgkmcnt(0)
	ds_read_u16 v12, v1
	s_waitcnt lgkmcnt(0)
	; wave barrier
	s_waitcnt lgkmcnt(0)
	s_and_saveexec_b64 s[20:21], s[16:17]
	s_cbranch_execz .LBB19_95
; %bb.68:
	s_movk_i32 s18, 0x103
	v_bfrev_b32_e32 v3, -4.0
	v_cmp_gt_u32_e32 vcc, s18, v0
	v_subb_co_u32_e64 v3, s[18:19], v3, v0, vcc
	s_mov_b32 s18, 0xbacf914d
	v_sub_u32_e32 v2, 0x103, v0
	v_mul_hi_u32 v3, v3, s18
	v_subb_co_u32_e64 v2, s[18:19], v2, v3, vcc
	v_lshrrev_b32_e32 v2, 1, v2
	v_add_u32_e32 v2, v2, v3
	v_lshrrev_b32_e32 v2, 5, v2
	v_addc_co_u32_e32 v2, vcc, 0, v2, vcc
	v_lshrrev_b32_e32 v3, 1, v2
	s_mov_b32 s28, 0
	v_add_u32_e32 v3, 1, v3
	v_cmp_lt_u32_e32 vcc, 5, v2
	s_and_saveexec_b64 s[22:23], vcc
	s_cbranch_execz .LBB19_88
; %bb.69:
	v_and_b32_e32 v4, 0xffffffc, v3
	v_lshlrev_b32_e32 v6, 2, v0
	s_mov_b64 s[24:25], 0
	v_mov_b32_e32 v7, 0
	s_branch .LBB19_71
.LBB19_70:                              ;   in Loop: Header=BB19_71 Depth=1
	s_or_b64 exec, exec, s[18:19]
	v_add_u32_e32 v4, -4, v4
	s_add_i32 s18, s28, 8
	v_cmp_eq_u32_e32 vcc, 0, v4
	s_add_i32 s28, s29, 2
	v_add_u32_e32 v6, 0x4a0, v6
	s_or_b64 s[24:25], vcc, s[24:25]
	v_mov_b32_e32 v5, s18
	s_andn2_b64 exec, exec, s[24:25]
	s_cbranch_execz .LBB19_87
.LBB19_71:                              ; =>This Inner Loop Header: Depth=1
	s_or_b32 s18, s28, 1
	v_cmp_le_u32_e32 vcc, s18, v2
	v_cmp_le_u32_e64 s[18:19], s28, v2
	s_and_saveexec_b64 s[26:27], s[18:19]
	s_cbranch_execz .LBB19_73
; %bb.72:                               ;   in Loop: Header=BB19_71 Depth=1
	ds_write_b32 v6, v7
.LBB19_73:                              ;   in Loop: Header=BB19_71 Depth=1
	s_or_b64 exec, exec, s[26:27]
	s_and_saveexec_b64 s[18:19], vcc
	s_cbranch_execz .LBB19_75
; %bb.74:                               ;   in Loop: Header=BB19_71 Depth=1
	ds_write_b32 v6, v7 offset:148
.LBB19_75:                              ;   in Loop: Header=BB19_71 Depth=1
	s_or_b64 exec, exec, s[18:19]
	s_add_i32 s29, s28, 2
	s_add_i32 s18, s28, 3
	v_cmp_le_u32_e32 vcc, s18, v2
	v_cmp_le_u32_e64 s[18:19], s29, v2
	s_and_saveexec_b64 s[26:27], s[18:19]
	s_cbranch_execz .LBB19_77
; %bb.76:                               ;   in Loop: Header=BB19_71 Depth=1
	ds_write_b32 v6, v7 offset:296
.LBB19_77:                              ;   in Loop: Header=BB19_71 Depth=1
	s_or_b64 exec, exec, s[26:27]
	s_and_saveexec_b64 s[18:19], vcc
	s_cbranch_execz .LBB19_79
; %bb.78:                               ;   in Loop: Header=BB19_71 Depth=1
	ds_write_b32 v6, v7 offset:444
.LBB19_79:                              ;   in Loop: Header=BB19_71 Depth=1
	s_or_b64 exec, exec, s[18:19]
	s_add_i32 s30, s29, 2
	s_add_i32 s29, s29, 3
	v_cmp_le_u32_e32 vcc, s29, v2
	v_cmp_le_u32_e64 s[18:19], s30, v2
	s_and_saveexec_b64 s[26:27], s[18:19]
	s_cbranch_execz .LBB19_81
; %bb.80:                               ;   in Loop: Header=BB19_71 Depth=1
	ds_write_b32 v6, v7 offset:592
.LBB19_81:                              ;   in Loop: Header=BB19_71 Depth=1
	;; [unrolled: 16-line block ×3, first 2 shown]
	s_or_b64 exec, exec, s[26:27]
	s_and_saveexec_b64 s[18:19], vcc
	s_cbranch_execz .LBB19_70
; %bb.86:                               ;   in Loop: Header=BB19_71 Depth=1
	ds_write_b32 v6, v7 offset:1036
	s_branch .LBB19_70
.LBB19_87:
	s_or_b64 exec, exec, s[24:25]
.LBB19_88:
	s_or_b64 exec, exec, s[22:23]
	v_and_b32_e32 v4, 3, v3
	v_cmp_ne_u32_e32 vcc, 0, v4
	s_and_b64 exec, exec, vcc
	s_cbranch_execz .LBB19_95
; %bb.89:
	s_movk_i32 s18, 0x94
	v_mul_lo_u32 v3, v5, s18
	v_lshl_add_u32 v3, v0, 2, v3
	v_mul_u32_u24_e32 v4, 0x94, v4
	s_mov_b64 s[22:23], 0
	v_mov_b32_e32 v6, 0
	s_branch .LBB19_91
.LBB19_90:                              ;   in Loop: Header=BB19_91 Depth=1
	s_or_b64 exec, exec, s[18:19]
	v_add_u32_e32 v4, 0xffffff6c, v4
	v_cmp_eq_u32_e32 vcc, 0, v4
	v_add_u32_e32 v5, 2, v5
	s_or_b64 s[22:23], vcc, s[22:23]
	v_add_u32_e32 v3, 0x128, v3
	s_andn2_b64 exec, exec, s[22:23]
	s_cbranch_execz .LBB19_95
.LBB19_91:                              ; =>This Inner Loop Header: Depth=1
	v_or_b32_e32 v7, 1, v5
	v_cmp_le_u32_e32 vcc, v7, v2
	v_cmp_le_u32_e64 s[18:19], v5, v2
	s_and_saveexec_b64 s[24:25], s[18:19]
	s_cbranch_execz .LBB19_93
; %bb.92:                               ;   in Loop: Header=BB19_91 Depth=1
	ds_write_b32 v3, v6
.LBB19_93:                              ;   in Loop: Header=BB19_91 Depth=1
	s_or_b64 exec, exec, s[24:25]
	s_and_saveexec_b64 s[18:19], vcc
	s_cbranch_execz .LBB19_90
; %bb.94:                               ;   in Loop: Header=BB19_91 Depth=1
	ds_write_b32 v3, v6 offset:148
	s_branch .LBB19_90
.LBB19_95:
	s_or_b64 exec, exec, s[20:21]
	v_lshrrev_b16_e32 v2, 4, v12
	s_movk_i32 s18, 0x7fff
	v_and_b32_e32 v2, 15, v2
	v_cmp_ne_u16_e32 vcc, s18, v12
	v_cndmask_b32_e32 v2, 0, v2, vcc
	v_mov_b32_e32 v3, 7
	v_mov_b32_e32 v4, 2
	v_and_b32_sdwa v3, v2, v3 dst_sel:DWORD dst_unused:UNUSED_PAD src0_sel:WORD_0 src1_sel:DWORD
	v_lshrrev_b32_sdwa v2, v4, v2 dst_sel:DWORD dst_unused:UNUSED_PAD src0_sel:DWORD src1_sel:WORD_0
	v_mad_u32_u24 v3, v3, 37, v0
	v_and_b32_e32 v2, 2, v2
	v_lshl_or_b32 v17, v3, 2, v2
	ds_read_u16 v14, v17
	s_waitcnt lgkmcnt(0)
	v_add_u16_e32 v2, 1, v14
	ds_write_b16 v17, v2
	s_waitcnt lgkmcnt(0)
	; wave barrier
	s_waitcnt lgkmcnt(0)
	ds_read2_b64 v[6:9], v13 offset1:1
	ds_read2_b64 v[2:5], v13 offset0:2 offset1:3
	s_waitcnt lgkmcnt(1)
	v_add_u32_e32 v18, v7, v6
	v_add3_u32 v18, v18, v8, v9
	s_waitcnt lgkmcnt(0)
	v_add3_u32 v18, v18, v2, v3
	v_add3_u32 v5, v18, v4, v5
	s_nop 1
	v_mov_b32_dpp v18, v5 row_shr:1 row_mask:0xf bank_mask:0xf
	v_cndmask_b32_e64 v18, v18, 0, s[14:15]
	v_add_u32_e32 v5, v18, v5
	s_nop 1
	v_mov_b32_dpp v18, v5 row_shr:2 row_mask:0xf bank_mask:0xf
	v_cndmask_b32_e64 v18, 0, v18, s[12:13]
	v_add_u32_e32 v5, v5, v18
	;; [unrolled: 4-line block ×4, first 2 shown]
	s_nop 1
	v_mov_b32_dpp v18, v5 row_bcast:15 row_mask:0xf bank_mask:0xf
	v_cndmask_b32_e64 v18, v18, 0, s[6:7]
	v_add_u32_e32 v5, v5, v18
	s_nop 1
	v_mov_b32_dpp v18, v5 row_bcast:31 row_mask:0xf bank_mask:0xf
	v_cndmask_b32_e64 v18, 0, v18, s[4:5]
	v_add_u32_e32 v5, v5, v18
	s_and_saveexec_b64 s[18:19], s[2:3]
	s_cbranch_execz .LBB19_97
; %bb.96:
	v_mov_b32_e32 v18, 0
	ds_write_b32 v18, v5 offset:1184
.LBB19_97:
	s_or_b64 exec, exec, s[18:19]
	ds_bpermute_b32 v18, v16, v5
	v_mov_b32_e32 v5, 0
	s_waitcnt lgkmcnt(0)
	; wave barrier
	s_waitcnt lgkmcnt(0)
	ds_read_b32 v19, v5 offset:1184
	v_cndmask_b32_e64 v18, v18, 0, s[0:1]
	s_waitcnt lgkmcnt(0)
	v_lshl_add_u32 v18, v19, 16, v18
	v_add_u32_e32 v19, v18, v6
	v_add_u32_e32 v6, v19, v7
	;; [unrolled: 1-line block ×7, first 2 shown]
	ds_write2_b64 v13, v[18:19], v[6:7] offset1:1
	ds_write2_b64 v13, v[8:9], v[2:3] offset0:2 offset1:3
	s_waitcnt lgkmcnt(0)
	; wave barrier
	s_waitcnt lgkmcnt(0)
	ds_read_u16 v2, v17
	v_mov_b32_e32 v3, 1
	v_lshlrev_b32_sdwa v3, v3, v14 dst_sel:DWORD dst_unused:UNUSED_PAD src0_sel:DWORD src1_sel:WORD_0
	s_waitcnt lgkmcnt(0)
	; wave barrier
	s_waitcnt lgkmcnt(0)
	v_lshl_add_u32 v2, v2, 1, v3
	ds_write_b16 v2, v12
	s_waitcnt lgkmcnt(0)
	; wave barrier
	s_waitcnt lgkmcnt(0)
	ds_read_u16 v12, v1
	s_waitcnt lgkmcnt(0)
	; wave barrier
	s_waitcnt lgkmcnt(0)
	s_and_saveexec_b64 s[20:21], s[16:17]
	s_cbranch_execz .LBB19_125
; %bb.98:
	s_movk_i32 s18, 0x103
	v_bfrev_b32_e32 v3, -4.0
	v_cmp_gt_u32_e32 vcc, s18, v0
	v_subb_co_u32_e64 v3, s[18:19], v3, v0, vcc
	s_mov_b32 s18, 0xbacf914d
	v_sub_u32_e32 v2, 0x103, v0
	v_mul_hi_u32 v3, v3, s18
	v_subb_co_u32_e64 v2, s[18:19], v2, v3, vcc
	v_lshrrev_b32_e32 v2, 1, v2
	v_add_u32_e32 v2, v2, v3
	v_lshrrev_b32_e32 v2, 5, v2
	v_addc_co_u32_e32 v2, vcc, 0, v2, vcc
	v_lshrrev_b32_e32 v3, 1, v2
	s_mov_b32 s28, 0
	v_add_u32_e32 v3, 1, v3
	v_cmp_lt_u32_e32 vcc, 5, v2
	s_and_saveexec_b64 s[22:23], vcc
	s_cbranch_execz .LBB19_118
; %bb.99:
	v_and_b32_e32 v4, 0xffffffc, v3
	v_lshlrev_b32_e32 v6, 2, v0
	s_mov_b64 s[24:25], 0
	v_mov_b32_e32 v7, 0
	s_branch .LBB19_101
.LBB19_100:                             ;   in Loop: Header=BB19_101 Depth=1
	s_or_b64 exec, exec, s[18:19]
	v_add_u32_e32 v4, -4, v4
	s_add_i32 s18, s28, 8
	v_cmp_eq_u32_e32 vcc, 0, v4
	s_add_i32 s28, s29, 2
	v_add_u32_e32 v6, 0x4a0, v6
	s_or_b64 s[24:25], vcc, s[24:25]
	v_mov_b32_e32 v5, s18
	s_andn2_b64 exec, exec, s[24:25]
	s_cbranch_execz .LBB19_117
.LBB19_101:                             ; =>This Inner Loop Header: Depth=1
	s_or_b32 s18, s28, 1
	v_cmp_le_u32_e32 vcc, s18, v2
	v_cmp_le_u32_e64 s[18:19], s28, v2
	s_and_saveexec_b64 s[26:27], s[18:19]
	s_cbranch_execz .LBB19_103
; %bb.102:                              ;   in Loop: Header=BB19_101 Depth=1
	ds_write_b32 v6, v7
.LBB19_103:                             ;   in Loop: Header=BB19_101 Depth=1
	s_or_b64 exec, exec, s[26:27]
	s_and_saveexec_b64 s[18:19], vcc
	s_cbranch_execz .LBB19_105
; %bb.104:                              ;   in Loop: Header=BB19_101 Depth=1
	ds_write_b32 v6, v7 offset:148
.LBB19_105:                             ;   in Loop: Header=BB19_101 Depth=1
	s_or_b64 exec, exec, s[18:19]
	s_add_i32 s29, s28, 2
	s_add_i32 s18, s28, 3
	v_cmp_le_u32_e32 vcc, s18, v2
	v_cmp_le_u32_e64 s[18:19], s29, v2
	s_and_saveexec_b64 s[26:27], s[18:19]
	s_cbranch_execz .LBB19_107
; %bb.106:                              ;   in Loop: Header=BB19_101 Depth=1
	ds_write_b32 v6, v7 offset:296
.LBB19_107:                             ;   in Loop: Header=BB19_101 Depth=1
	s_or_b64 exec, exec, s[26:27]
	s_and_saveexec_b64 s[18:19], vcc
	s_cbranch_execz .LBB19_109
; %bb.108:                              ;   in Loop: Header=BB19_101 Depth=1
	ds_write_b32 v6, v7 offset:444
.LBB19_109:                             ;   in Loop: Header=BB19_101 Depth=1
	s_or_b64 exec, exec, s[18:19]
	s_add_i32 s30, s29, 2
	s_add_i32 s29, s29, 3
	v_cmp_le_u32_e32 vcc, s29, v2
	v_cmp_le_u32_e64 s[18:19], s30, v2
	s_and_saveexec_b64 s[26:27], s[18:19]
	s_cbranch_execz .LBB19_111
; %bb.110:                              ;   in Loop: Header=BB19_101 Depth=1
	ds_write_b32 v6, v7 offset:592
.LBB19_111:                             ;   in Loop: Header=BB19_101 Depth=1
	;; [unrolled: 16-line block ×3, first 2 shown]
	s_or_b64 exec, exec, s[26:27]
	s_and_saveexec_b64 s[18:19], vcc
	s_cbranch_execz .LBB19_100
; %bb.116:                              ;   in Loop: Header=BB19_101 Depth=1
	ds_write_b32 v6, v7 offset:1036
	s_branch .LBB19_100
.LBB19_117:
	s_or_b64 exec, exec, s[24:25]
.LBB19_118:
	s_or_b64 exec, exec, s[22:23]
	v_and_b32_e32 v4, 3, v3
	v_cmp_ne_u32_e32 vcc, 0, v4
	s_and_b64 exec, exec, vcc
	s_cbranch_execz .LBB19_125
; %bb.119:
	s_movk_i32 s18, 0x94
	v_mul_lo_u32 v3, v5, s18
	v_lshl_add_u32 v3, v0, 2, v3
	v_mul_u32_u24_e32 v4, 0x94, v4
	s_mov_b64 s[22:23], 0
	v_mov_b32_e32 v6, 0
	s_branch .LBB19_121
.LBB19_120:                             ;   in Loop: Header=BB19_121 Depth=1
	s_or_b64 exec, exec, s[18:19]
	v_add_u32_e32 v4, 0xffffff6c, v4
	v_cmp_eq_u32_e32 vcc, 0, v4
	v_add_u32_e32 v5, 2, v5
	s_or_b64 s[22:23], vcc, s[22:23]
	v_add_u32_e32 v3, 0x128, v3
	s_andn2_b64 exec, exec, s[22:23]
	s_cbranch_execz .LBB19_125
.LBB19_121:                             ; =>This Inner Loop Header: Depth=1
	v_or_b32_e32 v7, 1, v5
	v_cmp_le_u32_e32 vcc, v7, v2
	v_cmp_le_u32_e64 s[18:19], v5, v2
	s_and_saveexec_b64 s[24:25], s[18:19]
	s_cbranch_execz .LBB19_123
; %bb.122:                              ;   in Loop: Header=BB19_121 Depth=1
	ds_write_b32 v3, v6
.LBB19_123:                             ;   in Loop: Header=BB19_121 Depth=1
	s_or_b64 exec, exec, s[24:25]
	s_and_saveexec_b64 s[18:19], vcc
	s_cbranch_execz .LBB19_120
; %bb.124:                              ;   in Loop: Header=BB19_121 Depth=1
	ds_write_b32 v3, v6 offset:148
	s_branch .LBB19_120
.LBB19_125:
	s_or_b64 exec, exec, s[20:21]
	v_mov_b32_e32 v2, 15
	s_movk_i32 s18, 0x7fff
	v_and_b32_sdwa v2, v12, v2 dst_sel:DWORD dst_unused:UNUSED_PAD src0_sel:BYTE_1 src1_sel:DWORD
	v_cmp_ne_u16_e32 vcc, s18, v12
	v_cndmask_b32_e32 v2, 0, v2, vcc
	v_mov_b32_e32 v3, 7
	v_mov_b32_e32 v4, 2
	v_and_b32_sdwa v3, v2, v3 dst_sel:DWORD dst_unused:UNUSED_PAD src0_sel:WORD_0 src1_sel:DWORD
	v_lshrrev_b32_sdwa v2, v4, v2 dst_sel:DWORD dst_unused:UNUSED_PAD src0_sel:DWORD src1_sel:WORD_0
	v_mad_u32_u24 v3, v3, 37, v0
	v_and_b32_e32 v2, 2, v2
	v_lshl_or_b32 v17, v3, 2, v2
	ds_read_u16 v14, v17
	s_waitcnt lgkmcnt(0)
	v_add_u16_e32 v2, 1, v14
	ds_write_b16 v17, v2
	s_waitcnt lgkmcnt(0)
	; wave barrier
	s_waitcnt lgkmcnt(0)
	ds_read2_b64 v[6:9], v13 offset1:1
	ds_read2_b64 v[2:5], v13 offset0:2 offset1:3
	s_waitcnt lgkmcnt(1)
	v_add_u32_e32 v18, v7, v6
	v_add3_u32 v18, v18, v8, v9
	s_waitcnt lgkmcnt(0)
	v_add3_u32 v18, v18, v2, v3
	v_add3_u32 v5, v18, v4, v5
	s_nop 1
	v_mov_b32_dpp v18, v5 row_shr:1 row_mask:0xf bank_mask:0xf
	v_cndmask_b32_e64 v18, v18, 0, s[14:15]
	v_add_u32_e32 v5, v18, v5
	s_nop 1
	v_mov_b32_dpp v18, v5 row_shr:2 row_mask:0xf bank_mask:0xf
	v_cndmask_b32_e64 v18, 0, v18, s[12:13]
	v_add_u32_e32 v5, v5, v18
	;; [unrolled: 4-line block ×4, first 2 shown]
	s_nop 1
	v_mov_b32_dpp v18, v5 row_bcast:15 row_mask:0xf bank_mask:0xf
	v_cndmask_b32_e64 v18, v18, 0, s[6:7]
	v_add_u32_e32 v5, v5, v18
	s_nop 1
	v_mov_b32_dpp v18, v5 row_bcast:31 row_mask:0xf bank_mask:0xf
	v_cndmask_b32_e64 v18, 0, v18, s[4:5]
	v_add_u32_e32 v5, v5, v18
	s_and_saveexec_b64 s[18:19], s[2:3]
	s_cbranch_execz .LBB19_127
; %bb.126:
	v_mov_b32_e32 v18, 0
	ds_write_b32 v18, v5 offset:1184
.LBB19_127:
	s_or_b64 exec, exec, s[18:19]
	ds_bpermute_b32 v18, v16, v5
	v_mov_b32_e32 v5, 0
	s_waitcnt lgkmcnt(0)
	; wave barrier
	s_waitcnt lgkmcnt(0)
	ds_read_b32 v19, v5 offset:1184
	v_cndmask_b32_e64 v18, v18, 0, s[0:1]
	s_waitcnt lgkmcnt(0)
	v_lshl_add_u32 v18, v19, 16, v18
	v_add_u32_e32 v19, v18, v6
	v_add_u32_e32 v6, v19, v7
	;; [unrolled: 1-line block ×7, first 2 shown]
	ds_write2_b64 v13, v[18:19], v[6:7] offset1:1
	ds_write2_b64 v13, v[8:9], v[2:3] offset0:2 offset1:3
	s_waitcnt lgkmcnt(0)
	; wave barrier
	s_waitcnt lgkmcnt(0)
	ds_read_u16 v2, v17
	v_mov_b32_e32 v3, 1
	v_lshlrev_b32_sdwa v3, v3, v14 dst_sel:DWORD dst_unused:UNUSED_PAD src0_sel:DWORD src1_sel:WORD_0
	s_waitcnt lgkmcnt(0)
	; wave barrier
	s_waitcnt lgkmcnt(0)
	v_lshl_add_u32 v2, v2, 1, v3
	ds_write_b16 v2, v12
	s_waitcnt lgkmcnt(0)
	; wave barrier
	s_waitcnt lgkmcnt(0)
	ds_read_u16 v8, v1
	s_waitcnt lgkmcnt(0)
	; wave barrier
	s_waitcnt lgkmcnt(0)
	s_and_saveexec_b64 s[18:19], s[16:17]
	s_cbranch_execz .LBB19_155
; %bb.128:
	s_movk_i32 s16, 0x103
	v_bfrev_b32_e32 v2, -4.0
	v_cmp_gt_u32_e32 vcc, s16, v0
	v_subb_co_u32_e64 v2, s[16:17], v2, v0, vcc
	s_mov_b32 s16, 0xbacf914d
	v_sub_u32_e32 v1, 0x103, v0
	v_mul_hi_u32 v2, v2, s16
	v_subb_co_u32_e64 v1, s[16:17], v1, v2, vcc
	v_lshrrev_b32_e32 v1, 1, v1
	v_add_u32_e32 v1, v1, v2
	v_lshrrev_b32_e32 v1, 5, v1
	v_addc_co_u32_e32 v1, vcc, 0, v1, vcc
	v_lshrrev_b32_e32 v2, 1, v1
	s_mov_b32 s26, 0
	v_add_u32_e32 v2, 1, v2
	v_cmp_lt_u32_e32 vcc, 5, v1
	s_and_saveexec_b64 s[20:21], vcc
	s_cbranch_execz .LBB19_148
; %bb.129:
	v_and_b32_e32 v3, 0xffffffc, v2
	v_lshlrev_b32_e32 v4, 2, v0
	s_mov_b64 s[22:23], 0
	v_mov_b32_e32 v6, 0
	s_branch .LBB19_131
.LBB19_130:                             ;   in Loop: Header=BB19_131 Depth=1
	s_or_b64 exec, exec, s[16:17]
	v_add_u32_e32 v3, -4, v3
	s_add_i32 s16, s26, 8
	v_cmp_eq_u32_e32 vcc, 0, v3
	s_add_i32 s26, s27, 2
	v_add_u32_e32 v4, 0x4a0, v4
	s_or_b64 s[22:23], vcc, s[22:23]
	v_mov_b32_e32 v5, s16
	s_andn2_b64 exec, exec, s[22:23]
	s_cbranch_execz .LBB19_147
.LBB19_131:                             ; =>This Inner Loop Header: Depth=1
	s_or_b32 s16, s26, 1
	v_cmp_le_u32_e32 vcc, s16, v1
	v_cmp_le_u32_e64 s[16:17], s26, v1
	s_and_saveexec_b64 s[24:25], s[16:17]
	s_cbranch_execz .LBB19_133
; %bb.132:                              ;   in Loop: Header=BB19_131 Depth=1
	ds_write_b32 v4, v6
.LBB19_133:                             ;   in Loop: Header=BB19_131 Depth=1
	s_or_b64 exec, exec, s[24:25]
	s_and_saveexec_b64 s[16:17], vcc
	s_cbranch_execz .LBB19_135
; %bb.134:                              ;   in Loop: Header=BB19_131 Depth=1
	ds_write_b32 v4, v6 offset:148
.LBB19_135:                             ;   in Loop: Header=BB19_131 Depth=1
	s_or_b64 exec, exec, s[16:17]
	s_add_i32 s27, s26, 2
	s_add_i32 s16, s26, 3
	v_cmp_le_u32_e32 vcc, s16, v1
	v_cmp_le_u32_e64 s[16:17], s27, v1
	s_and_saveexec_b64 s[24:25], s[16:17]
	s_cbranch_execz .LBB19_137
; %bb.136:                              ;   in Loop: Header=BB19_131 Depth=1
	ds_write_b32 v4, v6 offset:296
.LBB19_137:                             ;   in Loop: Header=BB19_131 Depth=1
	s_or_b64 exec, exec, s[24:25]
	s_and_saveexec_b64 s[16:17], vcc
	s_cbranch_execz .LBB19_139
; %bb.138:                              ;   in Loop: Header=BB19_131 Depth=1
	ds_write_b32 v4, v6 offset:444
.LBB19_139:                             ;   in Loop: Header=BB19_131 Depth=1
	s_or_b64 exec, exec, s[16:17]
	s_add_i32 s28, s27, 2
	s_add_i32 s27, s27, 3
	v_cmp_le_u32_e32 vcc, s27, v1
	v_cmp_le_u32_e64 s[16:17], s28, v1
	s_and_saveexec_b64 s[24:25], s[16:17]
	s_cbranch_execz .LBB19_141
; %bb.140:                              ;   in Loop: Header=BB19_131 Depth=1
	ds_write_b32 v4, v6 offset:592
.LBB19_141:                             ;   in Loop: Header=BB19_131 Depth=1
	;; [unrolled: 16-line block ×3, first 2 shown]
	s_or_b64 exec, exec, s[24:25]
	s_and_saveexec_b64 s[16:17], vcc
	s_cbranch_execz .LBB19_130
; %bb.146:                              ;   in Loop: Header=BB19_131 Depth=1
	ds_write_b32 v4, v6 offset:1036
	s_branch .LBB19_130
.LBB19_147:
	s_or_b64 exec, exec, s[22:23]
.LBB19_148:
	s_or_b64 exec, exec, s[20:21]
	v_and_b32_e32 v3, 3, v2
	v_cmp_ne_u32_e32 vcc, 0, v3
	s_and_b64 exec, exec, vcc
	s_cbranch_execz .LBB19_155
; %bb.149:
	s_movk_i32 s16, 0x94
	v_mul_lo_u32 v2, v5, s16
	v_lshl_add_u32 v2, v0, 2, v2
	v_mul_u32_u24_e32 v3, 0x94, v3
	s_mov_b64 s[20:21], 0
	v_mov_b32_e32 v4, 0
	s_branch .LBB19_151
.LBB19_150:                             ;   in Loop: Header=BB19_151 Depth=1
	s_or_b64 exec, exec, s[16:17]
	v_add_u32_e32 v3, 0xffffff6c, v3
	v_cmp_eq_u32_e32 vcc, 0, v3
	v_add_u32_e32 v5, 2, v5
	s_or_b64 s[20:21], vcc, s[20:21]
	v_add_u32_e32 v2, 0x128, v2
	s_andn2_b64 exec, exec, s[20:21]
	s_cbranch_execz .LBB19_155
.LBB19_151:                             ; =>This Inner Loop Header: Depth=1
	v_or_b32_e32 v6, 1, v5
	v_cmp_le_u32_e32 vcc, v6, v1
	v_cmp_le_u32_e64 s[16:17], v5, v1
	s_and_saveexec_b64 s[22:23], s[16:17]
	s_cbranch_execz .LBB19_153
; %bb.152:                              ;   in Loop: Header=BB19_151 Depth=1
	ds_write_b32 v2, v4
.LBB19_153:                             ;   in Loop: Header=BB19_151 Depth=1
	s_or_b64 exec, exec, s[22:23]
	s_and_saveexec_b64 s[16:17], vcc
	s_cbranch_execz .LBB19_150
; %bb.154:                              ;   in Loop: Header=BB19_151 Depth=1
	ds_write_b32 v2, v4 offset:148
	s_branch .LBB19_150
.LBB19_155:
	s_or_b64 exec, exec, s[18:19]
	s_movk_i32 s16, 0x7fff
	v_lshrrev_b16_e32 v1, 12, v8
	v_cmp_ne_u16_e32 vcc, s16, v8
	v_cndmask_b32_e32 v1, 8, v1, vcc
	v_mov_b32_e32 v2, 7
	v_and_b32_sdwa v2, v1, v2 dst_sel:DWORD dst_unused:UNUSED_PAD src0_sel:WORD_0 src1_sel:DWORD
	v_mad_u32_u24 v0, v2, 37, v0
	v_mov_b32_e32 v2, 2
	v_lshrrev_b32_sdwa v1, v2, v1 dst_sel:DWORD dst_unused:UNUSED_PAD src0_sel:DWORD src1_sel:WORD_0
	v_and_b32_e32 v1, 2, v1
	v_lshl_or_b32 v12, v0, 2, v1
	ds_read_u16 v9, v12
	s_waitcnt lgkmcnt(0)
	v_add_u16_e32 v0, 1, v9
	ds_write_b16 v12, v0
	s_waitcnt lgkmcnt(0)
	; wave barrier
	s_waitcnt lgkmcnt(0)
	ds_read2_b64 v[4:7], v13 offset1:1
	ds_read2_b64 v[0:3], v13 offset0:2 offset1:3
	s_waitcnt lgkmcnt(1)
	v_add_u32_e32 v14, v5, v4
	v_add3_u32 v14, v14, v6, v7
	s_waitcnt lgkmcnt(0)
	v_add3_u32 v14, v14, v0, v1
	v_add3_u32 v3, v14, v2, v3
	s_nop 1
	v_mov_b32_dpp v14, v3 row_shr:1 row_mask:0xf bank_mask:0xf
	v_cndmask_b32_e64 v14, v14, 0, s[14:15]
	v_add_u32_e32 v3, v14, v3
	s_nop 1
	v_mov_b32_dpp v14, v3 row_shr:2 row_mask:0xf bank_mask:0xf
	v_cndmask_b32_e64 v14, 0, v14, s[12:13]
	v_add_u32_e32 v3, v3, v14
	;; [unrolled: 4-line block ×4, first 2 shown]
	s_nop 1
	v_mov_b32_dpp v14, v3 row_bcast:15 row_mask:0xf bank_mask:0xf
	v_cndmask_b32_e64 v14, v14, 0, s[6:7]
	v_add_u32_e32 v3, v3, v14
	s_nop 1
	v_mov_b32_dpp v14, v3 row_bcast:31 row_mask:0xf bank_mask:0xf
	v_cndmask_b32_e64 v14, 0, v14, s[4:5]
	v_add_u32_e32 v3, v3, v14
	s_and_saveexec_b64 s[4:5], s[2:3]
	s_cbranch_execz .LBB19_157
; %bb.156:
	v_mov_b32_e32 v14, 0
	ds_write_b32 v14, v3 offset:1184
.LBB19_157:
	s_or_b64 exec, exec, s[4:5]
	ds_bpermute_b32 v3, v16, v3
	v_mov_b32_e32 v14, 0
	s_waitcnt lgkmcnt(0)
	; wave barrier
	s_waitcnt lgkmcnt(0)
	ds_read_b32 v14, v14 offset:1184
	v_cndmask_b32_e64 v3, v3, 0, s[0:1]
	s_waitcnt lgkmcnt(0)
	v_lshl_add_u32 v16, v14, 16, v3
	v_add_u32_e32 v17, v16, v4
	v_add_u32_e32 v4, v17, v5
	;; [unrolled: 1-line block ×7, first 2 shown]
	ds_write2_b64 v13, v[16:17], v[4:5] offset1:1
	ds_write2_b64 v13, v[6:7], v[0:1] offset0:2 offset1:3
	s_waitcnt lgkmcnt(0)
	; wave barrier
	s_waitcnt lgkmcnt(0)
	ds_read_u16 v0, v12
	v_mov_b32_e32 v1, 1
	v_lshlrev_b32_sdwa v1, v1, v9 dst_sel:DWORD dst_unused:UNUSED_PAD src0_sel:DWORD src1_sel:WORD_0
	s_waitcnt lgkmcnt(0)
	; wave barrier
	s_waitcnt lgkmcnt(0)
	v_lshl_add_u32 v0, v0, 1, v1
	ds_write_b16 v0, v8
	s_waitcnt lgkmcnt(0)
	; wave barrier
.LBB19_158:
	v_add_u32_e32 v0, v13, v15
	s_waitcnt lgkmcnt(0)
	ds_read_u16 v0, v0
	v_mov_b32_e32 v1, 0xffff8000
	s_waitcnt lgkmcnt(0)
	v_cmp_lt_i16_e32 vcc, -1, v0
	v_cndmask_b32_e64 v1, v1, -1, vcc
	v_xor_b32_e32 v0, v1, v0
	global_store_short v[10:11], v0, off
	s_endpgm
	.section	.rodata,"a",@progbits
	.p2align	6, 0x0
	.amdhsa_kernel _Z15sort_key_kernelILj37ELj1ELb0ELb0E12hip_bfloat16EvPT3_jj
		.amdhsa_group_segment_fixed_size 1200
		.amdhsa_private_segment_fixed_size 0
		.amdhsa_kernarg_size 16
		.amdhsa_user_sgpr_count 6
		.amdhsa_user_sgpr_private_segment_buffer 1
		.amdhsa_user_sgpr_dispatch_ptr 0
		.amdhsa_user_sgpr_queue_ptr 0
		.amdhsa_user_sgpr_kernarg_segment_ptr 1
		.amdhsa_user_sgpr_dispatch_id 0
		.amdhsa_user_sgpr_flat_scratch_init 0
		.amdhsa_user_sgpr_kernarg_preload_length 0
		.amdhsa_user_sgpr_kernarg_preload_offset 0
		.amdhsa_user_sgpr_private_segment_size 0
		.amdhsa_uses_dynamic_stack 0
		.amdhsa_system_sgpr_private_segment_wavefront_offset 0
		.amdhsa_system_sgpr_workgroup_id_x 1
		.amdhsa_system_sgpr_workgroup_id_y 0
		.amdhsa_system_sgpr_workgroup_id_z 0
		.amdhsa_system_sgpr_workgroup_info 0
		.amdhsa_system_vgpr_workitem_id 0
		.amdhsa_next_free_vgpr 28
		.amdhsa_next_free_sgpr 40
		.amdhsa_accum_offset 28
		.amdhsa_reserve_vcc 1
		.amdhsa_reserve_flat_scratch 0
		.amdhsa_float_round_mode_32 0
		.amdhsa_float_round_mode_16_64 0
		.amdhsa_float_denorm_mode_32 3
		.amdhsa_float_denorm_mode_16_64 3
		.amdhsa_dx10_clamp 1
		.amdhsa_ieee_mode 1
		.amdhsa_fp16_overflow 0
		.amdhsa_tg_split 0
		.amdhsa_exception_fp_ieee_invalid_op 0
		.amdhsa_exception_fp_denorm_src 0
		.amdhsa_exception_fp_ieee_div_zero 0
		.amdhsa_exception_fp_ieee_overflow 0
		.amdhsa_exception_fp_ieee_underflow 0
		.amdhsa_exception_fp_ieee_inexact 0
		.amdhsa_exception_int_div_zero 0
	.end_amdhsa_kernel
	.section	.text._Z15sort_key_kernelILj37ELj1ELb0ELb0E12hip_bfloat16EvPT3_jj,"axG",@progbits,_Z15sort_key_kernelILj37ELj1ELb0ELb0E12hip_bfloat16EvPT3_jj,comdat
.Lfunc_end19:
	.size	_Z15sort_key_kernelILj37ELj1ELb0ELb0E12hip_bfloat16EvPT3_jj, .Lfunc_end19-_Z15sort_key_kernelILj37ELj1ELb0ELb0E12hip_bfloat16EvPT3_jj
                                        ; -- End function
	.section	.AMDGPU.csdata,"",@progbits
; Kernel info:
; codeLenInByte = 5612
; NumSgprs: 44
; NumVgprs: 28
; NumAgprs: 0
; TotalNumVgprs: 28
; ScratchSize: 0
; MemoryBound: 0
; FloatMode: 240
; IeeeMode: 1
; LDSByteSize: 1200 bytes/workgroup (compile time only)
; SGPRBlocks: 5
; VGPRBlocks: 3
; NumSGPRsForWavesPerEU: 44
; NumVGPRsForWavesPerEU: 28
; AccumOffset: 28
; Occupancy: 8
; WaveLimiterHint : 0
; COMPUTE_PGM_RSRC2:SCRATCH_EN: 0
; COMPUTE_PGM_RSRC2:USER_SGPR: 6
; COMPUTE_PGM_RSRC2:TRAP_HANDLER: 0
; COMPUTE_PGM_RSRC2:TGID_X_EN: 1
; COMPUTE_PGM_RSRC2:TGID_Y_EN: 0
; COMPUTE_PGM_RSRC2:TGID_Z_EN: 0
; COMPUTE_PGM_RSRC2:TIDIG_COMP_CNT: 0
; COMPUTE_PGM_RSRC3_GFX90A:ACCUM_OFFSET: 6
; COMPUTE_PGM_RSRC3_GFX90A:TG_SPLIT: 0
	.section	.text._Z15sort_key_kernelILj37ELj1ELb0ELb0EfEvPT3_jj,"axG",@progbits,_Z15sort_key_kernelILj37ELj1ELb0ELb0EfEvPT3_jj,comdat
	.protected	_Z15sort_key_kernelILj37ELj1ELb0ELb0EfEvPT3_jj ; -- Begin function _Z15sort_key_kernelILj37ELj1ELb0ELb0EfEvPT3_jj
	.globl	_Z15sort_key_kernelILj37ELj1ELb0ELb0EfEvPT3_jj
	.p2align	8
	.type	_Z15sort_key_kernelILj37ELj1ELb0ELb0EfEvPT3_jj,@function
_Z15sort_key_kernelILj37ELj1ELb0ELb0EfEvPT3_jj: ; @_Z15sort_key_kernelILj37ELj1ELb0ELb0EfEvPT3_jj
; %bb.0:
	s_load_dwordx4 s[24:27], s[4:5], 0x0
	s_mul_i32 s0, s6, 37
	s_mov_b32 s1, 0
	s_lshl_b64 s[0:1], s[0:1], 2
	v_lshlrev_b32_e32 v1, 2, v0
	s_waitcnt lgkmcnt(0)
	s_add_u32 s18, s24, s0
	s_addc_u32 s19, s25, s1
	global_load_dword v2, v1, s[18:19]
	v_mbcnt_lo_u32_b32 v3, -1, 0
	v_mbcnt_hi_u32_b32 v3, -1, v3
	v_add_u32_e32 v6, -1, v3
	v_and_b32_e32 v7, 64, v3
	s_movk_i32 s0, 0x128
	v_cmp_lt_i32_e32 vcc, v6, v7
	v_cmp_gt_u32_e64 s[16:17], s0, v0
	v_and_b32_e32 v4, 15, v3
	v_and_b32_e32 v5, 16, v3
	v_cmp_lt_u32_e64 s[4:5], 31, v3
	v_cmp_eq_u32_e64 s[0:1], 0, v3
	v_cndmask_b32_e32 v3, v6, v3, vcc
	s_cmp_eq_u32 s26, 0
	v_lshlrev_b32_e32 v16, 2, v3
	v_mov_b32_e32 v3, s19
	v_add_co_u32_e32 v10, vcc, s18, v1
	s_cselect_b64 s[18:19], -1, 0
	s_cmp_eq_u32 s27, 32
	s_cselect_b64 s[22:23], -1, 0
	v_addc_co_u32_e32 v11, vcc, 0, v3, vcc
	s_and_b64 s[18:19], s[18:19], s[22:23]
	v_bfrev_b32_e32 v19, 1
	s_and_b64 vcc, exec, s[18:19]
	s_movk_i32 s6, 0xffe4
	v_lshlrev_b32_e32 v15, 5, v0
	s_mov_b64 s[20:21], -1
	v_cmp_eq_u32_e64 s[2:3], 36, v0
	v_mul_i32_i24_e32 v17, 0xffffffe4, v0
	v_mad_i32_i24 v13, v0, s6, v15
	v_cmp_eq_u32_e64 s[14:15], 0, v4
	v_cmp_lt_u32_e64 s[12:13], 1, v4
	v_cmp_lt_u32_e64 s[10:11], 3, v4
	;; [unrolled: 1-line block ×3, first 2 shown]
	v_cmp_eq_u32_e64 s[6:7], 0, v5
	s_waitcnt vmcnt(0)
	v_cmp_lt_i32_e64 s[18:19], -1, v2
	v_cndmask_b32_e64 v1, -1, v19, s[18:19]
	v_xor_b32_e32 v18, v1, v2
	s_cbranch_vccnz .LBB20_36
; %bb.1:
	s_movk_i32 s18, 0x103
	v_bfrev_b32_e32 v2, -4.0
	v_cmp_gt_u32_e32 vcc, s18, v0
	v_subb_co_u32_e64 v2, s[18:19], v2, v0, vcc
	s_mov_b32 s18, 0xbacf914d
	v_sub_u32_e32 v1, 0x103, v0
	v_mul_hi_u32 v2, v2, s18
	v_subb_co_u32_e64 v1, s[18:19], v1, v2, vcc
	v_lshrrev_b32_e32 v1, 1, v1
	v_add_u32_e32 v1, v1, v2
	v_lshrrev_b32_e32 v1, 5, v1
	v_addc_co_u32_e32 v12, vcc, 0, v1, vcc
	v_lshrrev_b32_e32 v1, 1, v12
	v_add_u32_e32 v2, 1, v1
	v_and_b32_e32 v3, 3, v2
	v_and_b32_e32 v20, 0xffffffc, v2
	v_mov_b32_e32 v2, 0x128
	v_mov_b32_e32 v1, v12
	v_cmp_lt_u32_e64 s[18:19], 5, v12
	v_cmp_ne_u32_e64 s[20:21], 0, v3
	v_lshl_add_u32 v21, v0, 2, v2
	v_lshl_add_u32 v14, v0, 5, v17
	s_movk_i32 s33, 0x94
	v_mul_u32_u24_e32 v22, 0x94, v3
	v_mov_b32_e32 v23, 0
	s_brev_b32 s36, -2
	v_mov_b32_e32 v24, 2
	v_mov_b32_e32 v3, v18
	s_branch .LBB20_3
.LBB20_2:                               ;   in Loop: Header=BB20_3 Depth=1
	; wave barrier
	ds_write_b32 v2, v25
	s_waitcnt lgkmcnt(0)
	; wave barrier
	s_waitcnt lgkmcnt(0)
	ds_read_b32 v3, v13
	s_waitcnt lgkmcnt(0)
	; wave barrier
	s_waitcnt lgkmcnt(0)
	s_cbranch_execz .LBB20_35
.LBB20_3:                               ; =>This Loop Header: Depth=1
                                        ;     Child Loop BB20_7 Depth 2
                                        ;     Child Loop BB20_27 Depth 2
	v_mov_b32_e32 v25, v3
	s_and_saveexec_b64 s[24:25], s[16:17]
	s_cbranch_execz .LBB20_31
; %bb.4:                                ;   in Loop: Header=BB20_3 Depth=1
	v_mov_b32_e32 v5, 0
	s_and_saveexec_b64 s[28:29], s[18:19]
	s_cbranch_execz .LBB20_24
; %bb.5:                                ;   in Loop: Header=BB20_3 Depth=1
	s_mov_b32 s37, 0
	s_mov_b64 s[30:31], 0
	v_mov_b32_e32 v2, v20
	v_mov_b32_e32 v3, v21
	;; [unrolled: 1-line block ×3, first 2 shown]
	s_branch .LBB20_7
.LBB20_6:                               ;   in Loop: Header=BB20_7 Depth=2
	s_or_b64 exec, exec, s[22:23]
	v_add_u32_e32 v2, -4, v2
	s_add_i32 s22, s37, 8
	v_cmp_eq_u32_e32 vcc, 0, v2
	s_add_i32 s37, s38, 2
	v_add_u32_e32 v4, 0x4a0, v4
	v_add_u32_e32 v3, 0x4a0, v3
	s_or_b64 s[30:31], vcc, s[30:31]
	v_mov_b32_e32 v5, s22
	s_andn2_b64 exec, exec, s[30:31]
	s_cbranch_execz .LBB20_23
.LBB20_7:                               ;   Parent Loop BB20_3 Depth=1
                                        ; =>  This Inner Loop Header: Depth=2
	s_or_b32 s22, s37, 1
	v_cmp_le_u32_e32 vcc, s22, v1
	v_cmp_le_u32_e64 s[22:23], s37, v12
	s_and_saveexec_b64 s[34:35], s[22:23]
	s_cbranch_execz .LBB20_9
; %bb.8:                                ;   in Loop: Header=BB20_7 Depth=2
	ds_write_b32 v4, v23
.LBB20_9:                               ;   in Loop: Header=BB20_7 Depth=2
	s_or_b64 exec, exec, s[34:35]
	s_and_saveexec_b64 s[22:23], vcc
	s_cbranch_execz .LBB20_11
; %bb.10:                               ;   in Loop: Header=BB20_7 Depth=2
	ds_write_b32 v4, v23 offset:148
.LBB20_11:                              ;   in Loop: Header=BB20_7 Depth=2
	s_or_b64 exec, exec, s[22:23]
	s_add_i32 s38, s37, 2
	s_add_i32 s22, s37, 3
	v_cmp_le_u32_e32 vcc, s22, v1
	v_cmp_le_u32_e64 s[22:23], s38, v12
	s_and_saveexec_b64 s[34:35], s[22:23]
	s_cbranch_execz .LBB20_13
; %bb.12:                               ;   in Loop: Header=BB20_7 Depth=2
	ds_write_b32 v3, v23
.LBB20_13:                              ;   in Loop: Header=BB20_7 Depth=2
	s_or_b64 exec, exec, s[34:35]
	s_and_saveexec_b64 s[22:23], vcc
	s_cbranch_execz .LBB20_15
; %bb.14:                               ;   in Loop: Header=BB20_7 Depth=2
	ds_write_b32 v3, v23 offset:148
.LBB20_15:                              ;   in Loop: Header=BB20_7 Depth=2
	s_or_b64 exec, exec, s[22:23]
	s_add_i32 s39, s38, 2
	s_add_i32 s38, s38, 3
	v_cmp_le_u32_e32 vcc, s38, v1
	v_cmp_le_u32_e64 s[22:23], s39, v12
	s_and_saveexec_b64 s[34:35], s[22:23]
	s_cbranch_execz .LBB20_17
; %bb.16:                               ;   in Loop: Header=BB20_7 Depth=2
	ds_write_b32 v3, v23 offset:296
.LBB20_17:                              ;   in Loop: Header=BB20_7 Depth=2
	s_or_b64 exec, exec, s[34:35]
	s_and_saveexec_b64 s[22:23], vcc
	s_cbranch_execz .LBB20_19
; %bb.18:                               ;   in Loop: Header=BB20_7 Depth=2
	ds_write_b32 v3, v23 offset:444
.LBB20_19:                              ;   in Loop: Header=BB20_7 Depth=2
	s_or_b64 exec, exec, s[22:23]
	s_add_i32 s38, s39, 2
	s_add_i32 s39, s39, 3
	v_cmp_le_u32_e32 vcc, s39, v1
	v_cmp_le_u32_e64 s[22:23], s38, v12
	s_and_saveexec_b64 s[34:35], s[22:23]
	s_cbranch_execz .LBB20_21
; %bb.20:                               ;   in Loop: Header=BB20_7 Depth=2
	ds_write_b32 v3, v23 offset:592
.LBB20_21:                              ;   in Loop: Header=BB20_7 Depth=2
	s_or_b64 exec, exec, s[34:35]
	s_and_saveexec_b64 s[22:23], vcc
	s_cbranch_execz .LBB20_6
; %bb.22:                               ;   in Loop: Header=BB20_7 Depth=2
	ds_write_b32 v3, v23 offset:740
	s_branch .LBB20_6
.LBB20_23:                              ;   in Loop: Header=BB20_3 Depth=1
	s_or_b64 exec, exec, s[30:31]
.LBB20_24:                              ;   in Loop: Header=BB20_3 Depth=1
	s_or_b64 exec, exec, s[28:29]
	s_and_b64 exec, exec, s[20:21]
	s_cbranch_execz .LBB20_31
; %bb.25:                               ;   in Loop: Header=BB20_3 Depth=1
	v_mad_u64_u32 v[2:3], s[22:23], v5, s33, v[14:15]
	s_mov_b64 s[28:29], 0
	v_mov_b32_e32 v3, v22
	s_branch .LBB20_27
.LBB20_26:                              ;   in Loop: Header=BB20_27 Depth=2
	s_or_b64 exec, exec, s[22:23]
	v_add_u32_e32 v3, 0xffffff6c, v3
	v_cmp_eq_u32_e32 vcc, 0, v3
	v_add_u32_e32 v5, 2, v5
	s_or_b64 s[28:29], vcc, s[28:29]
	v_add_u32_e32 v2, 0x128, v2
	s_andn2_b64 exec, exec, s[28:29]
	s_cbranch_execz .LBB20_31
.LBB20_27:                              ;   Parent Loop BB20_3 Depth=1
                                        ; =>  This Inner Loop Header: Depth=2
	v_or_b32_e32 v4, 1, v5
	v_cmp_le_u32_e32 vcc, v4, v1
	v_cmp_le_u32_e64 s[22:23], v5, v12
	s_and_saveexec_b64 s[30:31], s[22:23]
	s_cbranch_execz .LBB20_29
; %bb.28:                               ;   in Loop: Header=BB20_27 Depth=2
	ds_write_b32 v2, v23
.LBB20_29:                              ;   in Loop: Header=BB20_27 Depth=2
	s_or_b64 exec, exec, s[30:31]
	s_and_saveexec_b64 s[22:23], vcc
	s_cbranch_execz .LBB20_26
; %bb.30:                               ;   in Loop: Header=BB20_27 Depth=2
	ds_write_b32 v2, v23 offset:148
	s_branch .LBB20_26
.LBB20_31:                              ;   in Loop: Header=BB20_3 Depth=1
	s_or_b64 exec, exec, s[24:25]
	v_cmp_ne_u32_e32 vcc, s36, v25
	s_sub_i32 s22, s27, s26
	v_cndmask_b32_e32 v2, v19, v25, vcc
	s_min_u32 s22, s22, 4
	v_lshrrev_b32_e32 v2, s26, v2
	v_bfe_u32 v2, v2, 0, s22
	v_and_b32_e32 v3, 7, v2
	v_mul_u32_u24_e32 v3, 37, v3
	v_lshrrev_b32_e32 v2, 3, v2
	v_add_lshl_u32 v3, v3, v0, 1
	v_add_lshl_u32 v27, v3, v2, 1
	ds_read_u16 v26, v27
	s_waitcnt lgkmcnt(0)
	v_add_u16_e32 v2, 1, v26
	ds_write_b16 v27, v2
	s_waitcnt lgkmcnt(0)
	; wave barrier
	s_waitcnt lgkmcnt(0)
	ds_read2_b64 v[6:9], v15 offset1:1
	ds_read2_b64 v[2:5], v15 offset0:2 offset1:3
	s_waitcnt lgkmcnt(1)
	v_add_u32_e32 v28, v7, v6
	v_add3_u32 v28, v28, v8, v9
	s_waitcnt lgkmcnt(0)
	v_add3_u32 v28, v28, v2, v3
	v_add3_u32 v5, v28, v4, v5
	s_nop 1
	v_mov_b32_dpp v28, v5 row_shr:1 row_mask:0xf bank_mask:0xf
	v_cndmask_b32_e64 v28, v28, 0, s[14:15]
	v_add_u32_e32 v5, v28, v5
	s_nop 1
	v_mov_b32_dpp v28, v5 row_shr:2 row_mask:0xf bank_mask:0xf
	v_cndmask_b32_e64 v28, 0, v28, s[12:13]
	v_add_u32_e32 v5, v5, v28
	s_nop 1
	v_mov_b32_dpp v28, v5 row_shr:4 row_mask:0xf bank_mask:0xf
	v_cndmask_b32_e64 v28, 0, v28, s[10:11]
	v_add_u32_e32 v5, v5, v28
	s_nop 1
	v_mov_b32_dpp v28, v5 row_shr:8 row_mask:0xf bank_mask:0xf
	v_cndmask_b32_e64 v28, 0, v28, s[8:9]
	v_add_u32_e32 v5, v5, v28
	s_nop 1
	v_mov_b32_dpp v28, v5 row_bcast:15 row_mask:0xf bank_mask:0xf
	v_cndmask_b32_e64 v28, v28, 0, s[6:7]
	v_add_u32_e32 v5, v5, v28
	s_nop 1
	v_mov_b32_dpp v28, v5 row_bcast:31 row_mask:0xf bank_mask:0xf
	v_cndmask_b32_e64 v28, 0, v28, s[4:5]
	v_add_u32_e32 v5, v5, v28
	s_and_saveexec_b64 s[22:23], s[2:3]
	s_cbranch_execz .LBB20_33
; %bb.32:                               ;   in Loop: Header=BB20_3 Depth=1
	ds_write_b32 v23, v5 offset:1184
.LBB20_33:                              ;   in Loop: Header=BB20_3 Depth=1
	s_or_b64 exec, exec, s[22:23]
	ds_bpermute_b32 v5, v16, v5
	s_waitcnt lgkmcnt(0)
	; wave barrier
	s_waitcnt lgkmcnt(0)
	ds_read_b32 v28, v23 offset:1184
	s_add_i32 s26, s26, 4
	v_cndmask_b32_e64 v5, v5, 0, s[0:1]
	s_cmp_ge_u32 s26, s27
	s_waitcnt lgkmcnt(0)
	v_lshl_add_u32 v28, v28, 16, v5
	v_add_u32_e32 v29, v28, v6
	v_add_u32_e32 v6, v29, v7
	v_add_u32_e32 v7, v6, v8
	v_add_u32_e32 v8, v7, v9
	v_add_u32_e32 v9, v8, v2
	v_add_u32_e32 v2, v9, v3
	v_add_u32_e32 v3, v2, v4
	ds_write2_b64 v15, v[28:29], v[6:7] offset1:1
	ds_write2_b64 v15, v[8:9], v[2:3] offset0:2 offset1:3
	s_waitcnt lgkmcnt(0)
	; wave barrier
	s_waitcnt lgkmcnt(0)
	ds_read_u16 v2, v27
	v_lshlrev_b32_sdwa v3, v24, v26 dst_sel:DWORD dst_unused:UNUSED_PAD src0_sel:DWORD src1_sel:WORD_0
	s_waitcnt lgkmcnt(0)
	v_lshl_add_u32 v2, v2, 2, v3
	s_cbranch_scc0 .LBB20_2
; %bb.34:
                                        ; implicit-def: $vgpr3
.LBB20_35:
	s_mov_b64 s[20:21], 0
	; wave barrier
	ds_write_b32 v2, v25
	s_waitcnt lgkmcnt(0)
	; wave barrier
.LBB20_36:
	s_and_b64 vcc, exec, s[20:21]
	s_cbranch_vccz .LBB20_278
; %bb.37:
	s_and_saveexec_b64 s[20:21], s[16:17]
	s_cbranch_execz .LBB20_65
; %bb.38:
	s_movk_i32 s18, 0x103
	v_bfrev_b32_e32 v2, -4.0
	v_cmp_gt_u32_e32 vcc, s18, v0
	v_subb_co_u32_e64 v2, s[18:19], v2, v0, vcc
	s_mov_b32 s18, 0xbacf914d
	v_sub_u32_e32 v1, 0x103, v0
	v_mul_hi_u32 v2, v2, s18
	v_subb_co_u32_e64 v1, s[18:19], v1, v2, vcc
	v_lshrrev_b32_e32 v1, 1, v1
	v_add_u32_e32 v1, v1, v2
	v_lshrrev_b32_e32 v1, 5, v1
	v_addc_co_u32_e32 v1, vcc, 0, v1, vcc
	v_lshrrev_b32_e32 v2, 1, v1
	s_mov_b32 s28, 0
	v_mov_b32_e32 v7, 0
	v_add_u32_e32 v2, 1, v2
	v_cmp_lt_u32_e32 vcc, 5, v1
	s_and_saveexec_b64 s[22:23], vcc
	s_cbranch_execz .LBB20_58
; %bb.39:
	v_mov_b32_e32 v4, 0x128
	v_and_b32_e32 v3, 0xffffffc, v2
	v_lshl_add_u32 v4, v0, 2, v4
	s_mov_b64 s[24:25], 0
	v_mov_b32_e32 v5, 0
	v_mov_b32_e32 v6, v13
	s_branch .LBB20_41
.LBB20_40:                              ;   in Loop: Header=BB20_41 Depth=1
	s_or_b64 exec, exec, s[18:19]
	v_add_u32_e32 v3, -4, v3
	s_add_i32 s18, s28, 8
	v_cmp_eq_u32_e32 vcc, 0, v3
	s_add_i32 s28, s29, 2
	v_add_u32_e32 v6, 0x4a0, v6
	v_add_u32_e32 v4, 0x4a0, v4
	s_or_b64 s[24:25], vcc, s[24:25]
	v_mov_b32_e32 v7, s18
	s_andn2_b64 exec, exec, s[24:25]
	s_cbranch_execz .LBB20_57
.LBB20_41:                              ; =>This Inner Loop Header: Depth=1
	s_or_b32 s18, s28, 1
	v_cmp_le_u32_e32 vcc, s18, v1
	v_cmp_le_u32_e64 s[18:19], s28, v1
	s_and_saveexec_b64 s[26:27], s[18:19]
	s_cbranch_execz .LBB20_43
; %bb.42:                               ;   in Loop: Header=BB20_41 Depth=1
	ds_write_b32 v6, v5
.LBB20_43:                              ;   in Loop: Header=BB20_41 Depth=1
	s_or_b64 exec, exec, s[26:27]
	s_and_saveexec_b64 s[18:19], vcc
	s_cbranch_execz .LBB20_45
; %bb.44:                               ;   in Loop: Header=BB20_41 Depth=1
	ds_write_b32 v6, v5 offset:148
.LBB20_45:                              ;   in Loop: Header=BB20_41 Depth=1
	s_or_b64 exec, exec, s[18:19]
	s_add_i32 s29, s28, 2
	s_add_i32 s18, s28, 3
	v_cmp_le_u32_e32 vcc, s18, v1
	v_cmp_le_u32_e64 s[18:19], s29, v1
	s_and_saveexec_b64 s[26:27], s[18:19]
	s_cbranch_execz .LBB20_47
; %bb.46:                               ;   in Loop: Header=BB20_41 Depth=1
	ds_write_b32 v4, v5
.LBB20_47:                              ;   in Loop: Header=BB20_41 Depth=1
	s_or_b64 exec, exec, s[26:27]
	s_and_saveexec_b64 s[18:19], vcc
	s_cbranch_execz .LBB20_49
; %bb.48:                               ;   in Loop: Header=BB20_41 Depth=1
	ds_write_b32 v4, v5 offset:148
.LBB20_49:                              ;   in Loop: Header=BB20_41 Depth=1
	s_or_b64 exec, exec, s[18:19]
	s_add_i32 s30, s29, 2
	s_add_i32 s29, s29, 3
	v_cmp_le_u32_e32 vcc, s29, v1
	v_cmp_le_u32_e64 s[18:19], s30, v1
	s_and_saveexec_b64 s[26:27], s[18:19]
	s_cbranch_execz .LBB20_51
; %bb.50:                               ;   in Loop: Header=BB20_41 Depth=1
	ds_write_b32 v4, v5 offset:296
.LBB20_51:                              ;   in Loop: Header=BB20_41 Depth=1
	s_or_b64 exec, exec, s[26:27]
	s_and_saveexec_b64 s[18:19], vcc
	s_cbranch_execz .LBB20_53
; %bb.52:                               ;   in Loop: Header=BB20_41 Depth=1
	ds_write_b32 v4, v5 offset:444
.LBB20_53:                              ;   in Loop: Header=BB20_41 Depth=1
	s_or_b64 exec, exec, s[18:19]
	s_add_i32 s29, s30, 2
	s_add_i32 s30, s30, 3
	v_cmp_le_u32_e32 vcc, s30, v1
	v_cmp_le_u32_e64 s[18:19], s29, v1
	s_and_saveexec_b64 s[26:27], s[18:19]
	s_cbranch_execz .LBB20_55
; %bb.54:                               ;   in Loop: Header=BB20_41 Depth=1
	ds_write_b32 v4, v5 offset:592
.LBB20_55:                              ;   in Loop: Header=BB20_41 Depth=1
	s_or_b64 exec, exec, s[26:27]
	s_and_saveexec_b64 s[18:19], vcc
	s_cbranch_execz .LBB20_40
; %bb.56:                               ;   in Loop: Header=BB20_41 Depth=1
	ds_write_b32 v4, v5 offset:740
	s_branch .LBB20_40
.LBB20_57:
	s_or_b64 exec, exec, s[24:25]
.LBB20_58:
	s_or_b64 exec, exec, s[22:23]
	v_and_b32_e32 v3, 3, v2
	v_cmp_ne_u32_e32 vcc, 0, v3
	s_and_b64 exec, exec, vcc
	s_cbranch_execz .LBB20_65
; %bb.59:
	s_movk_i32 s18, 0x94
	v_mul_lo_u32 v2, v7, s18
	v_add3_u32 v2, v17, v2, v15
	v_mul_u32_u24_e32 v3, 0x94, v3
	s_mov_b64 s[22:23], 0
	v_mov_b32_e32 v4, 0
	s_branch .LBB20_61
.LBB20_60:                              ;   in Loop: Header=BB20_61 Depth=1
	s_or_b64 exec, exec, s[18:19]
	v_add_u32_e32 v3, 0xffffff6c, v3
	v_cmp_eq_u32_e32 vcc, 0, v3
	v_add_u32_e32 v7, 2, v7
	s_or_b64 s[22:23], vcc, s[22:23]
	v_add_u32_e32 v2, 0x128, v2
	s_andn2_b64 exec, exec, s[22:23]
	s_cbranch_execz .LBB20_65
.LBB20_61:                              ; =>This Inner Loop Header: Depth=1
	v_or_b32_e32 v5, 1, v7
	v_cmp_le_u32_e32 vcc, v5, v1
	v_cmp_le_u32_e64 s[18:19], v7, v1
	s_and_saveexec_b64 s[24:25], s[18:19]
	s_cbranch_execz .LBB20_63
; %bb.62:                               ;   in Loop: Header=BB20_61 Depth=1
	ds_write_b32 v2, v4
.LBB20_63:                              ;   in Loop: Header=BB20_61 Depth=1
	s_or_b64 exec, exec, s[24:25]
	s_and_saveexec_b64 s[18:19], vcc
	s_cbranch_execz .LBB20_60
; %bb.64:                               ;   in Loop: Header=BB20_61 Depth=1
	ds_write_b32 v2, v4 offset:148
	s_branch .LBB20_60
.LBB20_65:
	s_or_b64 exec, exec, s[20:21]
	s_brev_b32 s18, -2
	v_bfrev_b32_e32 v1, 1
	v_cmp_ne_u32_e32 vcc, s18, v18
	v_cndmask_b32_e32 v1, v1, v18, vcc
	v_and_b32_e32 v2, 7, v1
	v_lshrrev_b32_e32 v1, 2, v1
	v_mad_u32_u24 v2, v2, 37, v0
	v_and_b32_e32 v1, 2, v1
	v_lshl_or_b32 v12, v2, 2, v1
	ds_read_u16 v1, v12
	s_waitcnt lgkmcnt(0)
	v_add_u16_e32 v2, 1, v1
	ds_write_b16 v12, v2
	s_waitcnt lgkmcnt(0)
	; wave barrier
	s_waitcnt lgkmcnt(0)
	ds_read2_b64 v[6:9], v15 offset1:1
	ds_read2_b64 v[2:5], v15 offset0:2 offset1:3
	s_waitcnt lgkmcnt(1)
	v_add_u32_e32 v14, v7, v6
	v_add3_u32 v14, v14, v8, v9
	s_waitcnt lgkmcnt(0)
	v_add3_u32 v14, v14, v2, v3
	v_add3_u32 v5, v14, v4, v5
	s_nop 1
	v_mov_b32_dpp v14, v5 row_shr:1 row_mask:0xf bank_mask:0xf
	v_cndmask_b32_e64 v14, v14, 0, s[14:15]
	v_add_u32_e32 v5, v14, v5
	s_nop 1
	v_mov_b32_dpp v14, v5 row_shr:2 row_mask:0xf bank_mask:0xf
	v_cndmask_b32_e64 v14, 0, v14, s[12:13]
	v_add_u32_e32 v5, v5, v14
	;; [unrolled: 4-line block ×4, first 2 shown]
	s_nop 1
	v_mov_b32_dpp v14, v5 row_bcast:15 row_mask:0xf bank_mask:0xf
	v_cndmask_b32_e64 v14, v14, 0, s[6:7]
	v_add_u32_e32 v5, v5, v14
	s_nop 1
	v_mov_b32_dpp v14, v5 row_bcast:31 row_mask:0xf bank_mask:0xf
	v_cndmask_b32_e64 v14, 0, v14, s[4:5]
	v_add_u32_e32 v5, v5, v14
	s_and_saveexec_b64 s[18:19], s[2:3]
	s_cbranch_execz .LBB20_67
; %bb.66:
	v_mov_b32_e32 v14, 0
	ds_write_b32 v14, v5 offset:1184
.LBB20_67:
	s_or_b64 exec, exec, s[18:19]
	ds_bpermute_b32 v14, v16, v5
	v_mov_b32_e32 v5, 0
	s_waitcnt lgkmcnt(0)
	; wave barrier
	s_waitcnt lgkmcnt(0)
	ds_read_b32 v19, v5 offset:1184
	v_cndmask_b32_e64 v14, v14, 0, s[0:1]
	s_waitcnt lgkmcnt(0)
	v_lshl_add_u32 v20, v19, 16, v14
	v_add_u32_e32 v21, v20, v6
	v_add_u32_e32 v6, v21, v7
	;; [unrolled: 1-line block ×7, first 2 shown]
	ds_write2_b64 v15, v[20:21], v[6:7] offset1:1
	ds_write2_b64 v15, v[8:9], v[2:3] offset0:2 offset1:3
	s_waitcnt lgkmcnt(0)
	; wave barrier
	s_waitcnt lgkmcnt(0)
	ds_read_u16 v2, v12
	v_mov_b32_e32 v3, 2
	v_lshlrev_b32_sdwa v1, v3, v1 dst_sel:DWORD dst_unused:UNUSED_PAD src0_sel:DWORD src1_sel:WORD_0
	s_waitcnt lgkmcnt(0)
	; wave barrier
	s_waitcnt lgkmcnt(0)
	v_lshl_add_u32 v1, v2, 2, v1
	ds_write_b32 v1, v18
	s_waitcnt lgkmcnt(0)
	; wave barrier
	s_waitcnt lgkmcnt(0)
	ds_read_b32 v1, v13
	s_waitcnt lgkmcnt(0)
	; wave barrier
	s_waitcnt lgkmcnt(0)
	s_and_saveexec_b64 s[20:21], s[16:17]
	s_cbranch_execz .LBB20_95
; %bb.68:
	s_movk_i32 s18, 0x103
	v_bfrev_b32_e32 v3, -4.0
	v_cmp_gt_u32_e32 vcc, s18, v0
	v_subb_co_u32_e64 v3, s[18:19], v3, v0, vcc
	s_mov_b32 s18, 0xbacf914d
	v_sub_u32_e32 v2, 0x103, v0
	v_mul_hi_u32 v3, v3, s18
	v_subb_co_u32_e64 v2, s[18:19], v2, v3, vcc
	v_lshrrev_b32_e32 v2, 1, v2
	v_add_u32_e32 v2, v2, v3
	v_lshrrev_b32_e32 v2, 5, v2
	v_addc_co_u32_e32 v2, vcc, 0, v2, vcc
	v_lshrrev_b32_e32 v3, 1, v2
	s_mov_b32 s28, 0
	v_add_u32_e32 v3, 1, v3
	v_cmp_lt_u32_e32 vcc, 5, v2
	s_and_saveexec_b64 s[22:23], vcc
	s_cbranch_execz .LBB20_88
; %bb.69:
	v_mov_b32_e32 v5, 0x128
	v_and_b32_e32 v4, 0xffffffc, v3
	v_lshl_add_u32 v6, v0, 2, v5
	s_mov_b64 s[24:25], 0
	v_mov_b32_e32 v7, 0
	v_mov_b32_e32 v8, v13
	s_branch .LBB20_71
.LBB20_70:                              ;   in Loop: Header=BB20_71 Depth=1
	s_or_b64 exec, exec, s[18:19]
	v_add_u32_e32 v4, -4, v4
	s_add_i32 s18, s28, 8
	v_cmp_eq_u32_e32 vcc, 0, v4
	s_add_i32 s28, s29, 2
	v_add_u32_e32 v8, 0x4a0, v8
	v_add_u32_e32 v6, 0x4a0, v6
	s_or_b64 s[24:25], vcc, s[24:25]
	v_mov_b32_e32 v5, s18
	s_andn2_b64 exec, exec, s[24:25]
	s_cbranch_execz .LBB20_87
.LBB20_71:                              ; =>This Inner Loop Header: Depth=1
	s_or_b32 s18, s28, 1
	v_cmp_le_u32_e32 vcc, s18, v2
	v_cmp_le_u32_e64 s[18:19], s28, v2
	s_and_saveexec_b64 s[26:27], s[18:19]
	s_cbranch_execz .LBB20_73
; %bb.72:                               ;   in Loop: Header=BB20_71 Depth=1
	ds_write_b32 v8, v7
.LBB20_73:                              ;   in Loop: Header=BB20_71 Depth=1
	s_or_b64 exec, exec, s[26:27]
	s_and_saveexec_b64 s[18:19], vcc
	s_cbranch_execz .LBB20_75
; %bb.74:                               ;   in Loop: Header=BB20_71 Depth=1
	ds_write_b32 v8, v7 offset:148
.LBB20_75:                              ;   in Loop: Header=BB20_71 Depth=1
	s_or_b64 exec, exec, s[18:19]
	s_add_i32 s29, s28, 2
	s_add_i32 s18, s28, 3
	v_cmp_le_u32_e32 vcc, s18, v2
	v_cmp_le_u32_e64 s[18:19], s29, v2
	s_and_saveexec_b64 s[26:27], s[18:19]
	s_cbranch_execz .LBB20_77
; %bb.76:                               ;   in Loop: Header=BB20_71 Depth=1
	ds_write_b32 v6, v7
.LBB20_77:                              ;   in Loop: Header=BB20_71 Depth=1
	s_or_b64 exec, exec, s[26:27]
	s_and_saveexec_b64 s[18:19], vcc
	s_cbranch_execz .LBB20_79
; %bb.78:                               ;   in Loop: Header=BB20_71 Depth=1
	ds_write_b32 v6, v7 offset:148
.LBB20_79:                              ;   in Loop: Header=BB20_71 Depth=1
	s_or_b64 exec, exec, s[18:19]
	s_add_i32 s30, s29, 2
	s_add_i32 s29, s29, 3
	v_cmp_le_u32_e32 vcc, s29, v2
	v_cmp_le_u32_e64 s[18:19], s30, v2
	s_and_saveexec_b64 s[26:27], s[18:19]
	s_cbranch_execz .LBB20_81
; %bb.80:                               ;   in Loop: Header=BB20_71 Depth=1
	ds_write_b32 v6, v7 offset:296
.LBB20_81:                              ;   in Loop: Header=BB20_71 Depth=1
	s_or_b64 exec, exec, s[26:27]
	s_and_saveexec_b64 s[18:19], vcc
	s_cbranch_execz .LBB20_83
; %bb.82:                               ;   in Loop: Header=BB20_71 Depth=1
	ds_write_b32 v6, v7 offset:444
.LBB20_83:                              ;   in Loop: Header=BB20_71 Depth=1
	s_or_b64 exec, exec, s[18:19]
	s_add_i32 s29, s30, 2
	s_add_i32 s30, s30, 3
	v_cmp_le_u32_e32 vcc, s30, v2
	v_cmp_le_u32_e64 s[18:19], s29, v2
	s_and_saveexec_b64 s[26:27], s[18:19]
	s_cbranch_execz .LBB20_85
; %bb.84:                               ;   in Loop: Header=BB20_71 Depth=1
	ds_write_b32 v6, v7 offset:592
.LBB20_85:                              ;   in Loop: Header=BB20_71 Depth=1
	s_or_b64 exec, exec, s[26:27]
	s_and_saveexec_b64 s[18:19], vcc
	s_cbranch_execz .LBB20_70
; %bb.86:                               ;   in Loop: Header=BB20_71 Depth=1
	ds_write_b32 v6, v7 offset:740
	s_branch .LBB20_70
.LBB20_87:
	s_or_b64 exec, exec, s[24:25]
.LBB20_88:
	s_or_b64 exec, exec, s[22:23]
	v_and_b32_e32 v4, 3, v3
	v_cmp_ne_u32_e32 vcc, 0, v4
	s_and_b64 exec, exec, vcc
	s_cbranch_execz .LBB20_95
; %bb.89:
	s_movk_i32 s18, 0x94
	v_mul_lo_u32 v3, v5, s18
	v_add3_u32 v3, v17, v3, v15
	v_mul_u32_u24_e32 v4, 0x94, v4
	s_mov_b64 s[22:23], 0
	v_mov_b32_e32 v6, 0
	s_branch .LBB20_91
.LBB20_90:                              ;   in Loop: Header=BB20_91 Depth=1
	s_or_b64 exec, exec, s[18:19]
	v_add_u32_e32 v4, 0xffffff6c, v4
	v_cmp_eq_u32_e32 vcc, 0, v4
	v_add_u32_e32 v5, 2, v5
	s_or_b64 s[22:23], vcc, s[22:23]
	v_add_u32_e32 v3, 0x128, v3
	s_andn2_b64 exec, exec, s[22:23]
	s_cbranch_execz .LBB20_95
.LBB20_91:                              ; =>This Inner Loop Header: Depth=1
	v_or_b32_e32 v7, 1, v5
	v_cmp_le_u32_e32 vcc, v7, v2
	v_cmp_le_u32_e64 s[18:19], v5, v2
	s_and_saveexec_b64 s[24:25], s[18:19]
	s_cbranch_execz .LBB20_93
; %bb.92:                               ;   in Loop: Header=BB20_91 Depth=1
	ds_write_b32 v3, v6
.LBB20_93:                              ;   in Loop: Header=BB20_91 Depth=1
	s_or_b64 exec, exec, s[24:25]
	s_and_saveexec_b64 s[18:19], vcc
	s_cbranch_execz .LBB20_90
; %bb.94:                               ;   in Loop: Header=BB20_91 Depth=1
	ds_write_b32 v3, v6 offset:148
	s_branch .LBB20_90
.LBB20_95:
	s_or_b64 exec, exec, s[20:21]
	s_brev_b32 s18, -2
	v_lshrrev_b32_e32 v2, 4, v1
	v_bfrev_b32_e32 v3, 16
	v_cmp_ne_u32_e32 vcc, s18, v1
	v_cndmask_b32_e32 v2, v3, v2, vcc
	v_and_b32_e32 v3, 7, v2
	v_lshrrev_b32_e32 v2, 2, v2
	v_mad_u32_u24 v3, v3, 37, v0
	v_and_b32_e32 v2, 2, v2
	v_lshl_or_b32 v14, v3, 2, v2
	ds_read_u16 v12, v14
	s_waitcnt lgkmcnt(0)
	v_add_u16_e32 v2, 1, v12
	ds_write_b16 v14, v2
	s_waitcnt lgkmcnt(0)
	; wave barrier
	s_waitcnt lgkmcnt(0)
	ds_read2_b64 v[6:9], v15 offset1:1
	ds_read2_b64 v[2:5], v15 offset0:2 offset1:3
	s_waitcnt lgkmcnt(1)
	v_add_u32_e32 v18, v7, v6
	v_add3_u32 v18, v18, v8, v9
	s_waitcnt lgkmcnt(0)
	v_add3_u32 v18, v18, v2, v3
	v_add3_u32 v5, v18, v4, v5
	s_nop 1
	v_mov_b32_dpp v18, v5 row_shr:1 row_mask:0xf bank_mask:0xf
	v_cndmask_b32_e64 v18, v18, 0, s[14:15]
	v_add_u32_e32 v5, v18, v5
	s_nop 1
	v_mov_b32_dpp v18, v5 row_shr:2 row_mask:0xf bank_mask:0xf
	v_cndmask_b32_e64 v18, 0, v18, s[12:13]
	v_add_u32_e32 v5, v5, v18
	;; [unrolled: 4-line block ×4, first 2 shown]
	s_nop 1
	v_mov_b32_dpp v18, v5 row_bcast:15 row_mask:0xf bank_mask:0xf
	v_cndmask_b32_e64 v18, v18, 0, s[6:7]
	v_add_u32_e32 v5, v5, v18
	s_nop 1
	v_mov_b32_dpp v18, v5 row_bcast:31 row_mask:0xf bank_mask:0xf
	v_cndmask_b32_e64 v18, 0, v18, s[4:5]
	v_add_u32_e32 v5, v5, v18
	s_and_saveexec_b64 s[18:19], s[2:3]
	s_cbranch_execz .LBB20_97
; %bb.96:
	v_mov_b32_e32 v18, 0
	ds_write_b32 v18, v5 offset:1184
.LBB20_97:
	s_or_b64 exec, exec, s[18:19]
	ds_bpermute_b32 v18, v16, v5
	v_mov_b32_e32 v5, 0
	s_waitcnt lgkmcnt(0)
	; wave barrier
	s_waitcnt lgkmcnt(0)
	ds_read_b32 v19, v5 offset:1184
	v_cndmask_b32_e64 v18, v18, 0, s[0:1]
	s_waitcnt lgkmcnt(0)
	v_lshl_add_u32 v18, v19, 16, v18
	v_add_u32_e32 v19, v18, v6
	v_add_u32_e32 v6, v19, v7
	;; [unrolled: 1-line block ×7, first 2 shown]
	ds_write2_b64 v15, v[18:19], v[6:7] offset1:1
	ds_write2_b64 v15, v[8:9], v[2:3] offset0:2 offset1:3
	s_waitcnt lgkmcnt(0)
	; wave barrier
	s_waitcnt lgkmcnt(0)
	ds_read_u16 v2, v14
	v_mov_b32_e32 v3, 2
	v_lshlrev_b32_sdwa v3, v3, v12 dst_sel:DWORD dst_unused:UNUSED_PAD src0_sel:DWORD src1_sel:WORD_0
	s_waitcnt lgkmcnt(0)
	; wave barrier
	s_waitcnt lgkmcnt(0)
	v_lshl_add_u32 v2, v2, 2, v3
	ds_write_b32 v2, v1
	s_waitcnt lgkmcnt(0)
	; wave barrier
	s_waitcnt lgkmcnt(0)
	ds_read_b32 v1, v13
	s_waitcnt lgkmcnt(0)
	; wave barrier
	s_waitcnt lgkmcnt(0)
	s_and_saveexec_b64 s[20:21], s[16:17]
	s_cbranch_execz .LBB20_125
; %bb.98:
	s_movk_i32 s18, 0x103
	v_bfrev_b32_e32 v3, -4.0
	v_cmp_gt_u32_e32 vcc, s18, v0
	v_subb_co_u32_e64 v3, s[18:19], v3, v0, vcc
	s_mov_b32 s18, 0xbacf914d
	v_sub_u32_e32 v2, 0x103, v0
	v_mul_hi_u32 v3, v3, s18
	v_subb_co_u32_e64 v2, s[18:19], v2, v3, vcc
	v_lshrrev_b32_e32 v2, 1, v2
	v_add_u32_e32 v2, v2, v3
	v_lshrrev_b32_e32 v2, 5, v2
	v_addc_co_u32_e32 v2, vcc, 0, v2, vcc
	v_lshrrev_b32_e32 v3, 1, v2
	s_mov_b32 s28, 0
	v_add_u32_e32 v3, 1, v3
	v_cmp_lt_u32_e32 vcc, 5, v2
	s_and_saveexec_b64 s[22:23], vcc
	s_cbranch_execz .LBB20_118
; %bb.99:
	v_mov_b32_e32 v5, 0x128
	v_and_b32_e32 v4, 0xffffffc, v3
	v_lshl_add_u32 v6, v0, 2, v5
	s_mov_b64 s[24:25], 0
	v_mov_b32_e32 v7, 0
	v_mov_b32_e32 v8, v13
	s_branch .LBB20_101
.LBB20_100:                             ;   in Loop: Header=BB20_101 Depth=1
	s_or_b64 exec, exec, s[18:19]
	v_add_u32_e32 v4, -4, v4
	s_add_i32 s18, s28, 8
	v_cmp_eq_u32_e32 vcc, 0, v4
	s_add_i32 s28, s29, 2
	v_add_u32_e32 v8, 0x4a0, v8
	v_add_u32_e32 v6, 0x4a0, v6
	s_or_b64 s[24:25], vcc, s[24:25]
	v_mov_b32_e32 v5, s18
	s_andn2_b64 exec, exec, s[24:25]
	s_cbranch_execz .LBB20_117
.LBB20_101:                             ; =>This Inner Loop Header: Depth=1
	s_or_b32 s18, s28, 1
	v_cmp_le_u32_e32 vcc, s18, v2
	v_cmp_le_u32_e64 s[18:19], s28, v2
	s_and_saveexec_b64 s[26:27], s[18:19]
	s_cbranch_execz .LBB20_103
; %bb.102:                              ;   in Loop: Header=BB20_101 Depth=1
	ds_write_b32 v8, v7
.LBB20_103:                             ;   in Loop: Header=BB20_101 Depth=1
	s_or_b64 exec, exec, s[26:27]
	s_and_saveexec_b64 s[18:19], vcc
	s_cbranch_execz .LBB20_105
; %bb.104:                              ;   in Loop: Header=BB20_101 Depth=1
	ds_write_b32 v8, v7 offset:148
.LBB20_105:                             ;   in Loop: Header=BB20_101 Depth=1
	s_or_b64 exec, exec, s[18:19]
	s_add_i32 s29, s28, 2
	s_add_i32 s18, s28, 3
	v_cmp_le_u32_e32 vcc, s18, v2
	v_cmp_le_u32_e64 s[18:19], s29, v2
	s_and_saveexec_b64 s[26:27], s[18:19]
	s_cbranch_execz .LBB20_107
; %bb.106:                              ;   in Loop: Header=BB20_101 Depth=1
	ds_write_b32 v6, v7
.LBB20_107:                             ;   in Loop: Header=BB20_101 Depth=1
	s_or_b64 exec, exec, s[26:27]
	s_and_saveexec_b64 s[18:19], vcc
	s_cbranch_execz .LBB20_109
; %bb.108:                              ;   in Loop: Header=BB20_101 Depth=1
	ds_write_b32 v6, v7 offset:148
.LBB20_109:                             ;   in Loop: Header=BB20_101 Depth=1
	s_or_b64 exec, exec, s[18:19]
	s_add_i32 s30, s29, 2
	s_add_i32 s29, s29, 3
	v_cmp_le_u32_e32 vcc, s29, v2
	v_cmp_le_u32_e64 s[18:19], s30, v2
	s_and_saveexec_b64 s[26:27], s[18:19]
	s_cbranch_execz .LBB20_111
; %bb.110:                              ;   in Loop: Header=BB20_101 Depth=1
	ds_write_b32 v6, v7 offset:296
.LBB20_111:                             ;   in Loop: Header=BB20_101 Depth=1
	s_or_b64 exec, exec, s[26:27]
	s_and_saveexec_b64 s[18:19], vcc
	s_cbranch_execz .LBB20_113
; %bb.112:                              ;   in Loop: Header=BB20_101 Depth=1
	ds_write_b32 v6, v7 offset:444
.LBB20_113:                             ;   in Loop: Header=BB20_101 Depth=1
	s_or_b64 exec, exec, s[18:19]
	s_add_i32 s29, s30, 2
	s_add_i32 s30, s30, 3
	v_cmp_le_u32_e32 vcc, s30, v2
	v_cmp_le_u32_e64 s[18:19], s29, v2
	s_and_saveexec_b64 s[26:27], s[18:19]
	s_cbranch_execz .LBB20_115
; %bb.114:                              ;   in Loop: Header=BB20_101 Depth=1
	ds_write_b32 v6, v7 offset:592
.LBB20_115:                             ;   in Loop: Header=BB20_101 Depth=1
	s_or_b64 exec, exec, s[26:27]
	s_and_saveexec_b64 s[18:19], vcc
	s_cbranch_execz .LBB20_100
; %bb.116:                              ;   in Loop: Header=BB20_101 Depth=1
	ds_write_b32 v6, v7 offset:740
	s_branch .LBB20_100
.LBB20_117:
	s_or_b64 exec, exec, s[24:25]
.LBB20_118:
	s_or_b64 exec, exec, s[22:23]
	v_and_b32_e32 v4, 3, v3
	v_cmp_ne_u32_e32 vcc, 0, v4
	s_and_b64 exec, exec, vcc
	s_cbranch_execz .LBB20_125
; %bb.119:
	s_movk_i32 s18, 0x94
	v_mul_lo_u32 v3, v5, s18
	v_add3_u32 v3, v17, v3, v15
	v_mul_u32_u24_e32 v4, 0x94, v4
	s_mov_b64 s[22:23], 0
	v_mov_b32_e32 v6, 0
	s_branch .LBB20_121
.LBB20_120:                             ;   in Loop: Header=BB20_121 Depth=1
	s_or_b64 exec, exec, s[18:19]
	v_add_u32_e32 v4, 0xffffff6c, v4
	v_cmp_eq_u32_e32 vcc, 0, v4
	v_add_u32_e32 v5, 2, v5
	s_or_b64 s[22:23], vcc, s[22:23]
	v_add_u32_e32 v3, 0x128, v3
	s_andn2_b64 exec, exec, s[22:23]
	s_cbranch_execz .LBB20_125
.LBB20_121:                             ; =>This Inner Loop Header: Depth=1
	v_or_b32_e32 v7, 1, v5
	v_cmp_le_u32_e32 vcc, v7, v2
	v_cmp_le_u32_e64 s[18:19], v5, v2
	s_and_saveexec_b64 s[24:25], s[18:19]
	s_cbranch_execz .LBB20_123
; %bb.122:                              ;   in Loop: Header=BB20_121 Depth=1
	ds_write_b32 v3, v6
.LBB20_123:                             ;   in Loop: Header=BB20_121 Depth=1
	s_or_b64 exec, exec, s[24:25]
	s_and_saveexec_b64 s[18:19], vcc
	s_cbranch_execz .LBB20_120
; %bb.124:                              ;   in Loop: Header=BB20_121 Depth=1
	ds_write_b32 v3, v6 offset:148
	s_branch .LBB20_120
.LBB20_125:
	s_or_b64 exec, exec, s[20:21]
	s_brev_b32 s18, -2
	v_lshrrev_b32_e32 v2, 8, v1
	v_mov_b32_e32 v3, 0x800000
	v_cmp_ne_u32_e32 vcc, s18, v1
	v_cndmask_b32_e32 v2, v3, v2, vcc
	v_and_b32_e32 v3, 7, v2
	v_lshrrev_b32_e32 v2, 2, v2
	v_mad_u32_u24 v3, v3, 37, v0
	v_and_b32_e32 v2, 2, v2
	v_lshl_or_b32 v14, v3, 2, v2
	ds_read_u16 v12, v14
	s_waitcnt lgkmcnt(0)
	v_add_u16_e32 v2, 1, v12
	ds_write_b16 v14, v2
	s_waitcnt lgkmcnt(0)
	; wave barrier
	s_waitcnt lgkmcnt(0)
	ds_read2_b64 v[6:9], v15 offset1:1
	ds_read2_b64 v[2:5], v15 offset0:2 offset1:3
	s_waitcnt lgkmcnt(1)
	v_add_u32_e32 v18, v7, v6
	v_add3_u32 v18, v18, v8, v9
	s_waitcnt lgkmcnt(0)
	v_add3_u32 v18, v18, v2, v3
	v_add3_u32 v5, v18, v4, v5
	s_nop 1
	v_mov_b32_dpp v18, v5 row_shr:1 row_mask:0xf bank_mask:0xf
	v_cndmask_b32_e64 v18, v18, 0, s[14:15]
	v_add_u32_e32 v5, v18, v5
	s_nop 1
	v_mov_b32_dpp v18, v5 row_shr:2 row_mask:0xf bank_mask:0xf
	v_cndmask_b32_e64 v18, 0, v18, s[12:13]
	v_add_u32_e32 v5, v5, v18
	;; [unrolled: 4-line block ×4, first 2 shown]
	s_nop 1
	v_mov_b32_dpp v18, v5 row_bcast:15 row_mask:0xf bank_mask:0xf
	v_cndmask_b32_e64 v18, v18, 0, s[6:7]
	v_add_u32_e32 v5, v5, v18
	s_nop 1
	v_mov_b32_dpp v18, v5 row_bcast:31 row_mask:0xf bank_mask:0xf
	v_cndmask_b32_e64 v18, 0, v18, s[4:5]
	v_add_u32_e32 v5, v5, v18
	s_and_saveexec_b64 s[18:19], s[2:3]
	s_cbranch_execz .LBB20_127
; %bb.126:
	v_mov_b32_e32 v18, 0
	ds_write_b32 v18, v5 offset:1184
.LBB20_127:
	s_or_b64 exec, exec, s[18:19]
	ds_bpermute_b32 v18, v16, v5
	v_mov_b32_e32 v5, 0
	s_waitcnt lgkmcnt(0)
	; wave barrier
	s_waitcnt lgkmcnt(0)
	ds_read_b32 v19, v5 offset:1184
	v_cndmask_b32_e64 v18, v18, 0, s[0:1]
	s_waitcnt lgkmcnt(0)
	v_lshl_add_u32 v18, v19, 16, v18
	v_add_u32_e32 v19, v18, v6
	v_add_u32_e32 v6, v19, v7
	;; [unrolled: 1-line block ×7, first 2 shown]
	ds_write2_b64 v15, v[18:19], v[6:7] offset1:1
	ds_write2_b64 v15, v[8:9], v[2:3] offset0:2 offset1:3
	s_waitcnt lgkmcnt(0)
	; wave barrier
	s_waitcnt lgkmcnt(0)
	ds_read_u16 v2, v14
	v_mov_b32_e32 v3, 2
	v_lshlrev_b32_sdwa v3, v3, v12 dst_sel:DWORD dst_unused:UNUSED_PAD src0_sel:DWORD src1_sel:WORD_0
	s_waitcnt lgkmcnt(0)
	; wave barrier
	s_waitcnt lgkmcnt(0)
	v_lshl_add_u32 v2, v2, 2, v3
	ds_write_b32 v2, v1
	s_waitcnt lgkmcnt(0)
	; wave barrier
	s_waitcnt lgkmcnt(0)
	ds_read_b32 v1, v13
	s_waitcnt lgkmcnt(0)
	; wave barrier
	s_waitcnt lgkmcnt(0)
	s_and_saveexec_b64 s[20:21], s[16:17]
	s_cbranch_execz .LBB20_155
; %bb.128:
	s_movk_i32 s18, 0x103
	v_bfrev_b32_e32 v3, -4.0
	v_cmp_gt_u32_e32 vcc, s18, v0
	v_subb_co_u32_e64 v3, s[18:19], v3, v0, vcc
	s_mov_b32 s18, 0xbacf914d
	v_sub_u32_e32 v2, 0x103, v0
	v_mul_hi_u32 v3, v3, s18
	v_subb_co_u32_e64 v2, s[18:19], v2, v3, vcc
	v_lshrrev_b32_e32 v2, 1, v2
	v_add_u32_e32 v2, v2, v3
	v_lshrrev_b32_e32 v2, 5, v2
	v_addc_co_u32_e32 v2, vcc, 0, v2, vcc
	v_lshrrev_b32_e32 v3, 1, v2
	s_mov_b32 s28, 0
	v_add_u32_e32 v3, 1, v3
	v_cmp_lt_u32_e32 vcc, 5, v2
	s_and_saveexec_b64 s[22:23], vcc
	s_cbranch_execz .LBB20_148
; %bb.129:
	v_mov_b32_e32 v5, 0x128
	v_and_b32_e32 v4, 0xffffffc, v3
	v_lshl_add_u32 v6, v0, 2, v5
	s_mov_b64 s[24:25], 0
	v_mov_b32_e32 v7, 0
	v_mov_b32_e32 v8, v13
	s_branch .LBB20_131
.LBB20_130:                             ;   in Loop: Header=BB20_131 Depth=1
	s_or_b64 exec, exec, s[18:19]
	v_add_u32_e32 v4, -4, v4
	s_add_i32 s18, s28, 8
	v_cmp_eq_u32_e32 vcc, 0, v4
	s_add_i32 s28, s29, 2
	v_add_u32_e32 v8, 0x4a0, v8
	v_add_u32_e32 v6, 0x4a0, v6
	s_or_b64 s[24:25], vcc, s[24:25]
	v_mov_b32_e32 v5, s18
	s_andn2_b64 exec, exec, s[24:25]
	s_cbranch_execz .LBB20_147
.LBB20_131:                             ; =>This Inner Loop Header: Depth=1
	s_or_b32 s18, s28, 1
	v_cmp_le_u32_e32 vcc, s18, v2
	v_cmp_le_u32_e64 s[18:19], s28, v2
	s_and_saveexec_b64 s[26:27], s[18:19]
	s_cbranch_execz .LBB20_133
; %bb.132:                              ;   in Loop: Header=BB20_131 Depth=1
	ds_write_b32 v8, v7
.LBB20_133:                             ;   in Loop: Header=BB20_131 Depth=1
	s_or_b64 exec, exec, s[26:27]
	s_and_saveexec_b64 s[18:19], vcc
	s_cbranch_execz .LBB20_135
; %bb.134:                              ;   in Loop: Header=BB20_131 Depth=1
	ds_write_b32 v8, v7 offset:148
.LBB20_135:                             ;   in Loop: Header=BB20_131 Depth=1
	s_or_b64 exec, exec, s[18:19]
	s_add_i32 s29, s28, 2
	s_add_i32 s18, s28, 3
	v_cmp_le_u32_e32 vcc, s18, v2
	v_cmp_le_u32_e64 s[18:19], s29, v2
	s_and_saveexec_b64 s[26:27], s[18:19]
	s_cbranch_execz .LBB20_137
; %bb.136:                              ;   in Loop: Header=BB20_131 Depth=1
	ds_write_b32 v6, v7
.LBB20_137:                             ;   in Loop: Header=BB20_131 Depth=1
	s_or_b64 exec, exec, s[26:27]
	s_and_saveexec_b64 s[18:19], vcc
	s_cbranch_execz .LBB20_139
; %bb.138:                              ;   in Loop: Header=BB20_131 Depth=1
	ds_write_b32 v6, v7 offset:148
.LBB20_139:                             ;   in Loop: Header=BB20_131 Depth=1
	s_or_b64 exec, exec, s[18:19]
	s_add_i32 s30, s29, 2
	s_add_i32 s29, s29, 3
	v_cmp_le_u32_e32 vcc, s29, v2
	v_cmp_le_u32_e64 s[18:19], s30, v2
	s_and_saveexec_b64 s[26:27], s[18:19]
	s_cbranch_execz .LBB20_141
; %bb.140:                              ;   in Loop: Header=BB20_131 Depth=1
	ds_write_b32 v6, v7 offset:296
.LBB20_141:                             ;   in Loop: Header=BB20_131 Depth=1
	s_or_b64 exec, exec, s[26:27]
	s_and_saveexec_b64 s[18:19], vcc
	s_cbranch_execz .LBB20_143
; %bb.142:                              ;   in Loop: Header=BB20_131 Depth=1
	ds_write_b32 v6, v7 offset:444
.LBB20_143:                             ;   in Loop: Header=BB20_131 Depth=1
	s_or_b64 exec, exec, s[18:19]
	s_add_i32 s29, s30, 2
	s_add_i32 s30, s30, 3
	v_cmp_le_u32_e32 vcc, s30, v2
	v_cmp_le_u32_e64 s[18:19], s29, v2
	s_and_saveexec_b64 s[26:27], s[18:19]
	s_cbranch_execz .LBB20_145
; %bb.144:                              ;   in Loop: Header=BB20_131 Depth=1
	ds_write_b32 v6, v7 offset:592
.LBB20_145:                             ;   in Loop: Header=BB20_131 Depth=1
	s_or_b64 exec, exec, s[26:27]
	s_and_saveexec_b64 s[18:19], vcc
	s_cbranch_execz .LBB20_130
; %bb.146:                              ;   in Loop: Header=BB20_131 Depth=1
	ds_write_b32 v6, v7 offset:740
	s_branch .LBB20_130
.LBB20_147:
	s_or_b64 exec, exec, s[24:25]
.LBB20_148:
	s_or_b64 exec, exec, s[22:23]
	v_and_b32_e32 v4, 3, v3
	v_cmp_ne_u32_e32 vcc, 0, v4
	s_and_b64 exec, exec, vcc
	s_cbranch_execz .LBB20_155
; %bb.149:
	s_movk_i32 s18, 0x94
	v_mul_lo_u32 v3, v5, s18
	v_add3_u32 v3, v17, v3, v15
	v_mul_u32_u24_e32 v4, 0x94, v4
	s_mov_b64 s[22:23], 0
	v_mov_b32_e32 v6, 0
	s_branch .LBB20_151
.LBB20_150:                             ;   in Loop: Header=BB20_151 Depth=1
	s_or_b64 exec, exec, s[18:19]
	v_add_u32_e32 v4, 0xffffff6c, v4
	v_cmp_eq_u32_e32 vcc, 0, v4
	v_add_u32_e32 v5, 2, v5
	s_or_b64 s[22:23], vcc, s[22:23]
	v_add_u32_e32 v3, 0x128, v3
	s_andn2_b64 exec, exec, s[22:23]
	s_cbranch_execz .LBB20_155
.LBB20_151:                             ; =>This Inner Loop Header: Depth=1
	v_or_b32_e32 v7, 1, v5
	v_cmp_le_u32_e32 vcc, v7, v2
	v_cmp_le_u32_e64 s[18:19], v5, v2
	s_and_saveexec_b64 s[24:25], s[18:19]
	s_cbranch_execz .LBB20_153
; %bb.152:                              ;   in Loop: Header=BB20_151 Depth=1
	ds_write_b32 v3, v6
.LBB20_153:                             ;   in Loop: Header=BB20_151 Depth=1
	s_or_b64 exec, exec, s[24:25]
	s_and_saveexec_b64 s[18:19], vcc
	s_cbranch_execz .LBB20_150
; %bb.154:                              ;   in Loop: Header=BB20_151 Depth=1
	ds_write_b32 v3, v6 offset:148
	s_branch .LBB20_150
.LBB20_155:
	s_or_b64 exec, exec, s[20:21]
	s_brev_b32 s18, -2
	v_lshrrev_b32_e32 v2, 12, v1
	v_mov_b32_e32 v3, 0x80000
	v_cmp_ne_u32_e32 vcc, s18, v1
	v_cndmask_b32_e32 v2, v3, v2, vcc
	v_and_b32_e32 v3, 7, v2
	v_lshrrev_b32_e32 v2, 2, v2
	v_mad_u32_u24 v3, v3, 37, v0
	v_and_b32_e32 v2, 2, v2
	v_lshl_or_b32 v14, v3, 2, v2
	ds_read_u16 v12, v14
	s_waitcnt lgkmcnt(0)
	v_add_u16_e32 v2, 1, v12
	ds_write_b16 v14, v2
	s_waitcnt lgkmcnt(0)
	; wave barrier
	s_waitcnt lgkmcnt(0)
	ds_read2_b64 v[6:9], v15 offset1:1
	ds_read2_b64 v[2:5], v15 offset0:2 offset1:3
	s_waitcnt lgkmcnt(1)
	v_add_u32_e32 v18, v7, v6
	v_add3_u32 v18, v18, v8, v9
	s_waitcnt lgkmcnt(0)
	v_add3_u32 v18, v18, v2, v3
	v_add3_u32 v5, v18, v4, v5
	s_nop 1
	v_mov_b32_dpp v18, v5 row_shr:1 row_mask:0xf bank_mask:0xf
	v_cndmask_b32_e64 v18, v18, 0, s[14:15]
	v_add_u32_e32 v5, v18, v5
	s_nop 1
	v_mov_b32_dpp v18, v5 row_shr:2 row_mask:0xf bank_mask:0xf
	v_cndmask_b32_e64 v18, 0, v18, s[12:13]
	v_add_u32_e32 v5, v5, v18
	;; [unrolled: 4-line block ×4, first 2 shown]
	s_nop 1
	v_mov_b32_dpp v18, v5 row_bcast:15 row_mask:0xf bank_mask:0xf
	v_cndmask_b32_e64 v18, v18, 0, s[6:7]
	v_add_u32_e32 v5, v5, v18
	s_nop 1
	v_mov_b32_dpp v18, v5 row_bcast:31 row_mask:0xf bank_mask:0xf
	v_cndmask_b32_e64 v18, 0, v18, s[4:5]
	v_add_u32_e32 v5, v5, v18
	s_and_saveexec_b64 s[18:19], s[2:3]
	s_cbranch_execz .LBB20_157
; %bb.156:
	v_mov_b32_e32 v18, 0
	ds_write_b32 v18, v5 offset:1184
.LBB20_157:
	s_or_b64 exec, exec, s[18:19]
	ds_bpermute_b32 v18, v16, v5
	v_mov_b32_e32 v5, 0
	s_waitcnt lgkmcnt(0)
	; wave barrier
	s_waitcnt lgkmcnt(0)
	ds_read_b32 v19, v5 offset:1184
	v_cndmask_b32_e64 v18, v18, 0, s[0:1]
	s_waitcnt lgkmcnt(0)
	v_lshl_add_u32 v18, v19, 16, v18
	v_add_u32_e32 v19, v18, v6
	v_add_u32_e32 v6, v19, v7
	;; [unrolled: 1-line block ×7, first 2 shown]
	ds_write2_b64 v15, v[18:19], v[6:7] offset1:1
	ds_write2_b64 v15, v[8:9], v[2:3] offset0:2 offset1:3
	s_waitcnt lgkmcnt(0)
	; wave barrier
	s_waitcnt lgkmcnt(0)
	ds_read_u16 v2, v14
	v_mov_b32_e32 v3, 2
	v_lshlrev_b32_sdwa v3, v3, v12 dst_sel:DWORD dst_unused:UNUSED_PAD src0_sel:DWORD src1_sel:WORD_0
	s_waitcnt lgkmcnt(0)
	; wave barrier
	s_waitcnt lgkmcnt(0)
	v_lshl_add_u32 v2, v2, 2, v3
	ds_write_b32 v2, v1
	s_waitcnt lgkmcnt(0)
	; wave barrier
	s_waitcnt lgkmcnt(0)
	ds_read_b32 v1, v13
	s_waitcnt lgkmcnt(0)
	; wave barrier
	s_waitcnt lgkmcnt(0)
	s_and_saveexec_b64 s[20:21], s[16:17]
	s_cbranch_execz .LBB20_185
; %bb.158:
	s_movk_i32 s18, 0x103
	v_bfrev_b32_e32 v3, -4.0
	v_cmp_gt_u32_e32 vcc, s18, v0
	v_subb_co_u32_e64 v3, s[18:19], v3, v0, vcc
	s_mov_b32 s18, 0xbacf914d
	v_sub_u32_e32 v2, 0x103, v0
	v_mul_hi_u32 v3, v3, s18
	v_subb_co_u32_e64 v2, s[18:19], v2, v3, vcc
	v_lshrrev_b32_e32 v2, 1, v2
	v_add_u32_e32 v2, v2, v3
	v_lshrrev_b32_e32 v2, 5, v2
	v_addc_co_u32_e32 v2, vcc, 0, v2, vcc
	v_lshrrev_b32_e32 v3, 1, v2
	s_mov_b32 s28, 0
	v_add_u32_e32 v3, 1, v3
	v_cmp_lt_u32_e32 vcc, 5, v2
	s_and_saveexec_b64 s[22:23], vcc
	s_cbranch_execz .LBB20_178
; %bb.159:
	v_mov_b32_e32 v5, 0x128
	v_and_b32_e32 v4, 0xffffffc, v3
	v_lshl_add_u32 v6, v0, 2, v5
	s_mov_b64 s[24:25], 0
	v_mov_b32_e32 v7, 0
	v_mov_b32_e32 v8, v13
	s_branch .LBB20_161
.LBB20_160:                             ;   in Loop: Header=BB20_161 Depth=1
	s_or_b64 exec, exec, s[18:19]
	v_add_u32_e32 v4, -4, v4
	s_add_i32 s18, s28, 8
	v_cmp_eq_u32_e32 vcc, 0, v4
	s_add_i32 s28, s29, 2
	v_add_u32_e32 v8, 0x4a0, v8
	v_add_u32_e32 v6, 0x4a0, v6
	s_or_b64 s[24:25], vcc, s[24:25]
	v_mov_b32_e32 v5, s18
	s_andn2_b64 exec, exec, s[24:25]
	s_cbranch_execz .LBB20_177
.LBB20_161:                             ; =>This Inner Loop Header: Depth=1
	s_or_b32 s18, s28, 1
	v_cmp_le_u32_e32 vcc, s18, v2
	v_cmp_le_u32_e64 s[18:19], s28, v2
	s_and_saveexec_b64 s[26:27], s[18:19]
	s_cbranch_execz .LBB20_163
; %bb.162:                              ;   in Loop: Header=BB20_161 Depth=1
	ds_write_b32 v8, v7
.LBB20_163:                             ;   in Loop: Header=BB20_161 Depth=1
	s_or_b64 exec, exec, s[26:27]
	s_and_saveexec_b64 s[18:19], vcc
	s_cbranch_execz .LBB20_165
; %bb.164:                              ;   in Loop: Header=BB20_161 Depth=1
	ds_write_b32 v8, v7 offset:148
.LBB20_165:                             ;   in Loop: Header=BB20_161 Depth=1
	s_or_b64 exec, exec, s[18:19]
	s_add_i32 s29, s28, 2
	s_add_i32 s18, s28, 3
	v_cmp_le_u32_e32 vcc, s18, v2
	v_cmp_le_u32_e64 s[18:19], s29, v2
	s_and_saveexec_b64 s[26:27], s[18:19]
	s_cbranch_execz .LBB20_167
; %bb.166:                              ;   in Loop: Header=BB20_161 Depth=1
	ds_write_b32 v6, v7
.LBB20_167:                             ;   in Loop: Header=BB20_161 Depth=1
	s_or_b64 exec, exec, s[26:27]
	s_and_saveexec_b64 s[18:19], vcc
	s_cbranch_execz .LBB20_169
; %bb.168:                              ;   in Loop: Header=BB20_161 Depth=1
	ds_write_b32 v6, v7 offset:148
.LBB20_169:                             ;   in Loop: Header=BB20_161 Depth=1
	s_or_b64 exec, exec, s[18:19]
	s_add_i32 s30, s29, 2
	s_add_i32 s29, s29, 3
	v_cmp_le_u32_e32 vcc, s29, v2
	v_cmp_le_u32_e64 s[18:19], s30, v2
	s_and_saveexec_b64 s[26:27], s[18:19]
	s_cbranch_execz .LBB20_171
; %bb.170:                              ;   in Loop: Header=BB20_161 Depth=1
	ds_write_b32 v6, v7 offset:296
.LBB20_171:                             ;   in Loop: Header=BB20_161 Depth=1
	s_or_b64 exec, exec, s[26:27]
	s_and_saveexec_b64 s[18:19], vcc
	s_cbranch_execz .LBB20_173
; %bb.172:                              ;   in Loop: Header=BB20_161 Depth=1
	ds_write_b32 v6, v7 offset:444
.LBB20_173:                             ;   in Loop: Header=BB20_161 Depth=1
	s_or_b64 exec, exec, s[18:19]
	s_add_i32 s29, s30, 2
	s_add_i32 s30, s30, 3
	v_cmp_le_u32_e32 vcc, s30, v2
	v_cmp_le_u32_e64 s[18:19], s29, v2
	s_and_saveexec_b64 s[26:27], s[18:19]
	s_cbranch_execz .LBB20_175
; %bb.174:                              ;   in Loop: Header=BB20_161 Depth=1
	ds_write_b32 v6, v7 offset:592
.LBB20_175:                             ;   in Loop: Header=BB20_161 Depth=1
	s_or_b64 exec, exec, s[26:27]
	s_and_saveexec_b64 s[18:19], vcc
	s_cbranch_execz .LBB20_160
; %bb.176:                              ;   in Loop: Header=BB20_161 Depth=1
	ds_write_b32 v6, v7 offset:740
	s_branch .LBB20_160
.LBB20_177:
	s_or_b64 exec, exec, s[24:25]
.LBB20_178:
	s_or_b64 exec, exec, s[22:23]
	v_and_b32_e32 v4, 3, v3
	v_cmp_ne_u32_e32 vcc, 0, v4
	s_and_b64 exec, exec, vcc
	s_cbranch_execz .LBB20_185
; %bb.179:
	s_movk_i32 s18, 0x94
	v_mul_lo_u32 v3, v5, s18
	v_add3_u32 v3, v17, v3, v15
	v_mul_u32_u24_e32 v4, 0x94, v4
	s_mov_b64 s[22:23], 0
	v_mov_b32_e32 v6, 0
	s_branch .LBB20_181
.LBB20_180:                             ;   in Loop: Header=BB20_181 Depth=1
	s_or_b64 exec, exec, s[18:19]
	v_add_u32_e32 v4, 0xffffff6c, v4
	v_cmp_eq_u32_e32 vcc, 0, v4
	v_add_u32_e32 v5, 2, v5
	s_or_b64 s[22:23], vcc, s[22:23]
	v_add_u32_e32 v3, 0x128, v3
	s_andn2_b64 exec, exec, s[22:23]
	s_cbranch_execz .LBB20_185
.LBB20_181:                             ; =>This Inner Loop Header: Depth=1
	v_or_b32_e32 v7, 1, v5
	v_cmp_le_u32_e32 vcc, v7, v2
	v_cmp_le_u32_e64 s[18:19], v5, v2
	s_and_saveexec_b64 s[24:25], s[18:19]
	s_cbranch_execz .LBB20_183
; %bb.182:                              ;   in Loop: Header=BB20_181 Depth=1
	ds_write_b32 v3, v6
.LBB20_183:                             ;   in Loop: Header=BB20_181 Depth=1
	s_or_b64 exec, exec, s[24:25]
	s_and_saveexec_b64 s[18:19], vcc
	s_cbranch_execz .LBB20_180
; %bb.184:                              ;   in Loop: Header=BB20_181 Depth=1
	ds_write_b32 v3, v6 offset:148
	s_branch .LBB20_180
.LBB20_185:
	s_or_b64 exec, exec, s[20:21]
	s_brev_b32 s18, -2
	v_lshrrev_b32_e32 v2, 16, v1
	v_mov_b32_e32 v3, 0x8000
	v_cmp_ne_u32_e32 vcc, s18, v1
	v_cndmask_b32_e32 v2, v3, v2, vcc
	v_and_b32_e32 v3, 7, v2
	v_lshrrev_b32_e32 v2, 2, v2
	v_mad_u32_u24 v3, v3, 37, v0
	v_and_b32_e32 v2, 2, v2
	v_lshl_or_b32 v14, v3, 2, v2
	ds_read_u16 v12, v14
	s_waitcnt lgkmcnt(0)
	v_add_u16_e32 v2, 1, v12
	ds_write_b16 v14, v2
	s_waitcnt lgkmcnt(0)
	; wave barrier
	s_waitcnt lgkmcnt(0)
	ds_read2_b64 v[6:9], v15 offset1:1
	ds_read2_b64 v[2:5], v15 offset0:2 offset1:3
	s_waitcnt lgkmcnt(1)
	v_add_u32_e32 v18, v7, v6
	v_add3_u32 v18, v18, v8, v9
	s_waitcnt lgkmcnt(0)
	v_add3_u32 v18, v18, v2, v3
	v_add3_u32 v5, v18, v4, v5
	s_nop 1
	v_mov_b32_dpp v18, v5 row_shr:1 row_mask:0xf bank_mask:0xf
	v_cndmask_b32_e64 v18, v18, 0, s[14:15]
	v_add_u32_e32 v5, v18, v5
	s_nop 1
	v_mov_b32_dpp v18, v5 row_shr:2 row_mask:0xf bank_mask:0xf
	v_cndmask_b32_e64 v18, 0, v18, s[12:13]
	v_add_u32_e32 v5, v5, v18
	;; [unrolled: 4-line block ×4, first 2 shown]
	s_nop 1
	v_mov_b32_dpp v18, v5 row_bcast:15 row_mask:0xf bank_mask:0xf
	v_cndmask_b32_e64 v18, v18, 0, s[6:7]
	v_add_u32_e32 v5, v5, v18
	s_nop 1
	v_mov_b32_dpp v18, v5 row_bcast:31 row_mask:0xf bank_mask:0xf
	v_cndmask_b32_e64 v18, 0, v18, s[4:5]
	v_add_u32_e32 v5, v5, v18
	s_and_saveexec_b64 s[18:19], s[2:3]
	s_cbranch_execz .LBB20_187
; %bb.186:
	v_mov_b32_e32 v18, 0
	ds_write_b32 v18, v5 offset:1184
.LBB20_187:
	s_or_b64 exec, exec, s[18:19]
	ds_bpermute_b32 v18, v16, v5
	v_mov_b32_e32 v5, 0
	s_waitcnt lgkmcnt(0)
	; wave barrier
	s_waitcnt lgkmcnt(0)
	ds_read_b32 v19, v5 offset:1184
	v_cndmask_b32_e64 v18, v18, 0, s[0:1]
	s_waitcnt lgkmcnt(0)
	v_lshl_add_u32 v18, v19, 16, v18
	v_add_u32_e32 v19, v18, v6
	v_add_u32_e32 v6, v19, v7
	;; [unrolled: 1-line block ×7, first 2 shown]
	ds_write2_b64 v15, v[18:19], v[6:7] offset1:1
	ds_write2_b64 v15, v[8:9], v[2:3] offset0:2 offset1:3
	s_waitcnt lgkmcnt(0)
	; wave barrier
	s_waitcnt lgkmcnt(0)
	ds_read_u16 v2, v14
	v_mov_b32_e32 v3, 2
	v_lshlrev_b32_sdwa v3, v3, v12 dst_sel:DWORD dst_unused:UNUSED_PAD src0_sel:DWORD src1_sel:WORD_0
	s_waitcnt lgkmcnt(0)
	; wave barrier
	s_waitcnt lgkmcnt(0)
	v_lshl_add_u32 v2, v2, 2, v3
	ds_write_b32 v2, v1
	s_waitcnt lgkmcnt(0)
	; wave barrier
	s_waitcnt lgkmcnt(0)
	ds_read_b32 v1, v13
	s_waitcnt lgkmcnt(0)
	; wave barrier
	s_waitcnt lgkmcnt(0)
	s_and_saveexec_b64 s[20:21], s[16:17]
	s_cbranch_execz .LBB20_215
; %bb.188:
	s_movk_i32 s18, 0x103
	v_bfrev_b32_e32 v3, -4.0
	v_cmp_gt_u32_e32 vcc, s18, v0
	v_subb_co_u32_e64 v3, s[18:19], v3, v0, vcc
	s_mov_b32 s18, 0xbacf914d
	v_sub_u32_e32 v2, 0x103, v0
	v_mul_hi_u32 v3, v3, s18
	v_subb_co_u32_e64 v2, s[18:19], v2, v3, vcc
	v_lshrrev_b32_e32 v2, 1, v2
	v_add_u32_e32 v2, v2, v3
	v_lshrrev_b32_e32 v2, 5, v2
	v_addc_co_u32_e32 v2, vcc, 0, v2, vcc
	v_lshrrev_b32_e32 v3, 1, v2
	s_mov_b32 s28, 0
	v_add_u32_e32 v3, 1, v3
	v_cmp_lt_u32_e32 vcc, 5, v2
	s_and_saveexec_b64 s[22:23], vcc
	s_cbranch_execz .LBB20_208
; %bb.189:
	v_mov_b32_e32 v5, 0x128
	v_and_b32_e32 v4, 0xffffffc, v3
	v_lshl_add_u32 v6, v0, 2, v5
	s_mov_b64 s[24:25], 0
	v_mov_b32_e32 v7, 0
	v_mov_b32_e32 v8, v13
	s_branch .LBB20_191
.LBB20_190:                             ;   in Loop: Header=BB20_191 Depth=1
	s_or_b64 exec, exec, s[18:19]
	v_add_u32_e32 v4, -4, v4
	s_add_i32 s18, s28, 8
	v_cmp_eq_u32_e32 vcc, 0, v4
	s_add_i32 s28, s29, 2
	v_add_u32_e32 v8, 0x4a0, v8
	v_add_u32_e32 v6, 0x4a0, v6
	s_or_b64 s[24:25], vcc, s[24:25]
	v_mov_b32_e32 v5, s18
	s_andn2_b64 exec, exec, s[24:25]
	s_cbranch_execz .LBB20_207
.LBB20_191:                             ; =>This Inner Loop Header: Depth=1
	s_or_b32 s18, s28, 1
	v_cmp_le_u32_e32 vcc, s18, v2
	v_cmp_le_u32_e64 s[18:19], s28, v2
	s_and_saveexec_b64 s[26:27], s[18:19]
	s_cbranch_execz .LBB20_193
; %bb.192:                              ;   in Loop: Header=BB20_191 Depth=1
	ds_write_b32 v8, v7
.LBB20_193:                             ;   in Loop: Header=BB20_191 Depth=1
	s_or_b64 exec, exec, s[26:27]
	s_and_saveexec_b64 s[18:19], vcc
	s_cbranch_execz .LBB20_195
; %bb.194:                              ;   in Loop: Header=BB20_191 Depth=1
	ds_write_b32 v8, v7 offset:148
.LBB20_195:                             ;   in Loop: Header=BB20_191 Depth=1
	s_or_b64 exec, exec, s[18:19]
	s_add_i32 s29, s28, 2
	s_add_i32 s18, s28, 3
	v_cmp_le_u32_e32 vcc, s18, v2
	v_cmp_le_u32_e64 s[18:19], s29, v2
	s_and_saveexec_b64 s[26:27], s[18:19]
	s_cbranch_execz .LBB20_197
; %bb.196:                              ;   in Loop: Header=BB20_191 Depth=1
	ds_write_b32 v6, v7
.LBB20_197:                             ;   in Loop: Header=BB20_191 Depth=1
	s_or_b64 exec, exec, s[26:27]
	s_and_saveexec_b64 s[18:19], vcc
	s_cbranch_execz .LBB20_199
; %bb.198:                              ;   in Loop: Header=BB20_191 Depth=1
	ds_write_b32 v6, v7 offset:148
.LBB20_199:                             ;   in Loop: Header=BB20_191 Depth=1
	s_or_b64 exec, exec, s[18:19]
	s_add_i32 s30, s29, 2
	s_add_i32 s29, s29, 3
	v_cmp_le_u32_e32 vcc, s29, v2
	v_cmp_le_u32_e64 s[18:19], s30, v2
	s_and_saveexec_b64 s[26:27], s[18:19]
	s_cbranch_execz .LBB20_201
; %bb.200:                              ;   in Loop: Header=BB20_191 Depth=1
	ds_write_b32 v6, v7 offset:296
.LBB20_201:                             ;   in Loop: Header=BB20_191 Depth=1
	s_or_b64 exec, exec, s[26:27]
	s_and_saveexec_b64 s[18:19], vcc
	s_cbranch_execz .LBB20_203
; %bb.202:                              ;   in Loop: Header=BB20_191 Depth=1
	ds_write_b32 v6, v7 offset:444
.LBB20_203:                             ;   in Loop: Header=BB20_191 Depth=1
	s_or_b64 exec, exec, s[18:19]
	s_add_i32 s29, s30, 2
	s_add_i32 s30, s30, 3
	v_cmp_le_u32_e32 vcc, s30, v2
	v_cmp_le_u32_e64 s[18:19], s29, v2
	s_and_saveexec_b64 s[26:27], s[18:19]
	s_cbranch_execz .LBB20_205
; %bb.204:                              ;   in Loop: Header=BB20_191 Depth=1
	ds_write_b32 v6, v7 offset:592
.LBB20_205:                             ;   in Loop: Header=BB20_191 Depth=1
	s_or_b64 exec, exec, s[26:27]
	s_and_saveexec_b64 s[18:19], vcc
	s_cbranch_execz .LBB20_190
; %bb.206:                              ;   in Loop: Header=BB20_191 Depth=1
	ds_write_b32 v6, v7 offset:740
	s_branch .LBB20_190
.LBB20_207:
	s_or_b64 exec, exec, s[24:25]
.LBB20_208:
	s_or_b64 exec, exec, s[22:23]
	v_and_b32_e32 v4, 3, v3
	v_cmp_ne_u32_e32 vcc, 0, v4
	s_and_b64 exec, exec, vcc
	s_cbranch_execz .LBB20_215
; %bb.209:
	s_movk_i32 s18, 0x94
	v_mul_lo_u32 v3, v5, s18
	v_add3_u32 v3, v17, v3, v15
	v_mul_u32_u24_e32 v4, 0x94, v4
	s_mov_b64 s[22:23], 0
	v_mov_b32_e32 v6, 0
	s_branch .LBB20_211
.LBB20_210:                             ;   in Loop: Header=BB20_211 Depth=1
	s_or_b64 exec, exec, s[18:19]
	v_add_u32_e32 v4, 0xffffff6c, v4
	v_cmp_eq_u32_e32 vcc, 0, v4
	v_add_u32_e32 v5, 2, v5
	s_or_b64 s[22:23], vcc, s[22:23]
	v_add_u32_e32 v3, 0x128, v3
	s_andn2_b64 exec, exec, s[22:23]
	s_cbranch_execz .LBB20_215
.LBB20_211:                             ; =>This Inner Loop Header: Depth=1
	v_or_b32_e32 v7, 1, v5
	v_cmp_le_u32_e32 vcc, v7, v2
	v_cmp_le_u32_e64 s[18:19], v5, v2
	s_and_saveexec_b64 s[24:25], s[18:19]
	s_cbranch_execz .LBB20_213
; %bb.212:                              ;   in Loop: Header=BB20_211 Depth=1
	ds_write_b32 v3, v6
.LBB20_213:                             ;   in Loop: Header=BB20_211 Depth=1
	s_or_b64 exec, exec, s[24:25]
	s_and_saveexec_b64 s[18:19], vcc
	s_cbranch_execz .LBB20_210
; %bb.214:                              ;   in Loop: Header=BB20_211 Depth=1
	ds_write_b32 v3, v6 offset:148
	s_branch .LBB20_210
.LBB20_215:
	s_or_b64 exec, exec, s[20:21]
	s_brev_b32 s18, -2
	v_lshrrev_b32_e32 v2, 20, v1
	v_mov_b32_e32 v3, 0x800
	v_cmp_ne_u32_e32 vcc, s18, v1
	v_cndmask_b32_e32 v2, v3, v2, vcc
	v_and_b32_e32 v3, 7, v2
	v_lshrrev_b32_e32 v2, 2, v2
	v_mad_u32_u24 v3, v3, 37, v0
	v_and_b32_e32 v2, 2, v2
	v_lshl_or_b32 v14, v3, 2, v2
	ds_read_u16 v12, v14
	s_waitcnt lgkmcnt(0)
	v_add_u16_e32 v2, 1, v12
	ds_write_b16 v14, v2
	s_waitcnt lgkmcnt(0)
	; wave barrier
	s_waitcnt lgkmcnt(0)
	ds_read2_b64 v[6:9], v15 offset1:1
	ds_read2_b64 v[2:5], v15 offset0:2 offset1:3
	s_waitcnt lgkmcnt(1)
	v_add_u32_e32 v18, v7, v6
	v_add3_u32 v18, v18, v8, v9
	s_waitcnt lgkmcnt(0)
	v_add3_u32 v18, v18, v2, v3
	v_add3_u32 v5, v18, v4, v5
	s_nop 1
	v_mov_b32_dpp v18, v5 row_shr:1 row_mask:0xf bank_mask:0xf
	v_cndmask_b32_e64 v18, v18, 0, s[14:15]
	v_add_u32_e32 v5, v18, v5
	s_nop 1
	v_mov_b32_dpp v18, v5 row_shr:2 row_mask:0xf bank_mask:0xf
	v_cndmask_b32_e64 v18, 0, v18, s[12:13]
	v_add_u32_e32 v5, v5, v18
	s_nop 1
	v_mov_b32_dpp v18, v5 row_shr:4 row_mask:0xf bank_mask:0xf
	v_cndmask_b32_e64 v18, 0, v18, s[10:11]
	v_add_u32_e32 v5, v5, v18
	s_nop 1
	v_mov_b32_dpp v18, v5 row_shr:8 row_mask:0xf bank_mask:0xf
	v_cndmask_b32_e64 v18, 0, v18, s[8:9]
	v_add_u32_e32 v5, v5, v18
	s_nop 1
	v_mov_b32_dpp v18, v5 row_bcast:15 row_mask:0xf bank_mask:0xf
	v_cndmask_b32_e64 v18, v18, 0, s[6:7]
	v_add_u32_e32 v5, v5, v18
	s_nop 1
	v_mov_b32_dpp v18, v5 row_bcast:31 row_mask:0xf bank_mask:0xf
	v_cndmask_b32_e64 v18, 0, v18, s[4:5]
	v_add_u32_e32 v5, v5, v18
	s_and_saveexec_b64 s[18:19], s[2:3]
	s_cbranch_execz .LBB20_217
; %bb.216:
	v_mov_b32_e32 v18, 0
	ds_write_b32 v18, v5 offset:1184
.LBB20_217:
	s_or_b64 exec, exec, s[18:19]
	ds_bpermute_b32 v18, v16, v5
	v_mov_b32_e32 v5, 0
	s_waitcnt lgkmcnt(0)
	; wave barrier
	s_waitcnt lgkmcnt(0)
	ds_read_b32 v19, v5 offset:1184
	v_cndmask_b32_e64 v18, v18, 0, s[0:1]
	s_waitcnt lgkmcnt(0)
	v_lshl_add_u32 v18, v19, 16, v18
	v_add_u32_e32 v19, v18, v6
	v_add_u32_e32 v6, v19, v7
	;; [unrolled: 1-line block ×7, first 2 shown]
	ds_write2_b64 v15, v[18:19], v[6:7] offset1:1
	ds_write2_b64 v15, v[8:9], v[2:3] offset0:2 offset1:3
	s_waitcnt lgkmcnt(0)
	; wave barrier
	s_waitcnt lgkmcnt(0)
	ds_read_u16 v2, v14
	v_mov_b32_e32 v3, 2
	v_lshlrev_b32_sdwa v3, v3, v12 dst_sel:DWORD dst_unused:UNUSED_PAD src0_sel:DWORD src1_sel:WORD_0
	s_waitcnt lgkmcnt(0)
	; wave barrier
	s_waitcnt lgkmcnt(0)
	v_lshl_add_u32 v2, v2, 2, v3
	ds_write_b32 v2, v1
	s_waitcnt lgkmcnt(0)
	; wave barrier
	s_waitcnt lgkmcnt(0)
	ds_read_b32 v1, v13
	s_waitcnt lgkmcnt(0)
	; wave barrier
	s_waitcnt lgkmcnt(0)
	s_and_saveexec_b64 s[20:21], s[16:17]
	s_cbranch_execz .LBB20_245
; %bb.218:
	s_movk_i32 s18, 0x103
	v_bfrev_b32_e32 v3, -4.0
	v_cmp_gt_u32_e32 vcc, s18, v0
	v_subb_co_u32_e64 v3, s[18:19], v3, v0, vcc
	s_mov_b32 s18, 0xbacf914d
	v_sub_u32_e32 v2, 0x103, v0
	v_mul_hi_u32 v3, v3, s18
	v_subb_co_u32_e64 v2, s[18:19], v2, v3, vcc
	v_lshrrev_b32_e32 v2, 1, v2
	v_add_u32_e32 v2, v2, v3
	v_lshrrev_b32_e32 v2, 5, v2
	v_addc_co_u32_e32 v2, vcc, 0, v2, vcc
	v_lshrrev_b32_e32 v3, 1, v2
	s_mov_b32 s28, 0
	v_add_u32_e32 v3, 1, v3
	v_cmp_lt_u32_e32 vcc, 5, v2
	s_and_saveexec_b64 s[22:23], vcc
	s_cbranch_execz .LBB20_238
; %bb.219:
	v_mov_b32_e32 v5, 0x128
	v_and_b32_e32 v4, 0xffffffc, v3
	v_lshl_add_u32 v6, v0, 2, v5
	s_mov_b64 s[24:25], 0
	v_mov_b32_e32 v7, 0
	v_mov_b32_e32 v8, v13
	s_branch .LBB20_221
.LBB20_220:                             ;   in Loop: Header=BB20_221 Depth=1
	s_or_b64 exec, exec, s[18:19]
	v_add_u32_e32 v4, -4, v4
	s_add_i32 s18, s28, 8
	v_cmp_eq_u32_e32 vcc, 0, v4
	s_add_i32 s28, s29, 2
	v_add_u32_e32 v8, 0x4a0, v8
	v_add_u32_e32 v6, 0x4a0, v6
	s_or_b64 s[24:25], vcc, s[24:25]
	v_mov_b32_e32 v5, s18
	s_andn2_b64 exec, exec, s[24:25]
	s_cbranch_execz .LBB20_237
.LBB20_221:                             ; =>This Inner Loop Header: Depth=1
	s_or_b32 s18, s28, 1
	v_cmp_le_u32_e32 vcc, s18, v2
	v_cmp_le_u32_e64 s[18:19], s28, v2
	s_and_saveexec_b64 s[26:27], s[18:19]
	s_cbranch_execz .LBB20_223
; %bb.222:                              ;   in Loop: Header=BB20_221 Depth=1
	ds_write_b32 v8, v7
.LBB20_223:                             ;   in Loop: Header=BB20_221 Depth=1
	s_or_b64 exec, exec, s[26:27]
	s_and_saveexec_b64 s[18:19], vcc
	s_cbranch_execz .LBB20_225
; %bb.224:                              ;   in Loop: Header=BB20_221 Depth=1
	ds_write_b32 v8, v7 offset:148
.LBB20_225:                             ;   in Loop: Header=BB20_221 Depth=1
	s_or_b64 exec, exec, s[18:19]
	s_add_i32 s29, s28, 2
	s_add_i32 s18, s28, 3
	v_cmp_le_u32_e32 vcc, s18, v2
	v_cmp_le_u32_e64 s[18:19], s29, v2
	s_and_saveexec_b64 s[26:27], s[18:19]
	s_cbranch_execz .LBB20_227
; %bb.226:                              ;   in Loop: Header=BB20_221 Depth=1
	ds_write_b32 v6, v7
.LBB20_227:                             ;   in Loop: Header=BB20_221 Depth=1
	s_or_b64 exec, exec, s[26:27]
	s_and_saveexec_b64 s[18:19], vcc
	s_cbranch_execz .LBB20_229
; %bb.228:                              ;   in Loop: Header=BB20_221 Depth=1
	ds_write_b32 v6, v7 offset:148
.LBB20_229:                             ;   in Loop: Header=BB20_221 Depth=1
	s_or_b64 exec, exec, s[18:19]
	s_add_i32 s30, s29, 2
	s_add_i32 s29, s29, 3
	v_cmp_le_u32_e32 vcc, s29, v2
	v_cmp_le_u32_e64 s[18:19], s30, v2
	s_and_saveexec_b64 s[26:27], s[18:19]
	s_cbranch_execz .LBB20_231
; %bb.230:                              ;   in Loop: Header=BB20_221 Depth=1
	ds_write_b32 v6, v7 offset:296
.LBB20_231:                             ;   in Loop: Header=BB20_221 Depth=1
	s_or_b64 exec, exec, s[26:27]
	s_and_saveexec_b64 s[18:19], vcc
	s_cbranch_execz .LBB20_233
; %bb.232:                              ;   in Loop: Header=BB20_221 Depth=1
	ds_write_b32 v6, v7 offset:444
.LBB20_233:                             ;   in Loop: Header=BB20_221 Depth=1
	s_or_b64 exec, exec, s[18:19]
	s_add_i32 s29, s30, 2
	s_add_i32 s30, s30, 3
	v_cmp_le_u32_e32 vcc, s30, v2
	v_cmp_le_u32_e64 s[18:19], s29, v2
	s_and_saveexec_b64 s[26:27], s[18:19]
	s_cbranch_execz .LBB20_235
; %bb.234:                              ;   in Loop: Header=BB20_221 Depth=1
	ds_write_b32 v6, v7 offset:592
.LBB20_235:                             ;   in Loop: Header=BB20_221 Depth=1
	s_or_b64 exec, exec, s[26:27]
	s_and_saveexec_b64 s[18:19], vcc
	s_cbranch_execz .LBB20_220
; %bb.236:                              ;   in Loop: Header=BB20_221 Depth=1
	ds_write_b32 v6, v7 offset:740
	s_branch .LBB20_220
.LBB20_237:
	s_or_b64 exec, exec, s[24:25]
.LBB20_238:
	s_or_b64 exec, exec, s[22:23]
	v_and_b32_e32 v4, 3, v3
	v_cmp_ne_u32_e32 vcc, 0, v4
	s_and_b64 exec, exec, vcc
	s_cbranch_execz .LBB20_245
; %bb.239:
	s_movk_i32 s18, 0x94
	v_mul_lo_u32 v3, v5, s18
	v_add3_u32 v3, v17, v3, v15
	v_mul_u32_u24_e32 v4, 0x94, v4
	s_mov_b64 s[22:23], 0
	v_mov_b32_e32 v6, 0
	s_branch .LBB20_241
.LBB20_240:                             ;   in Loop: Header=BB20_241 Depth=1
	s_or_b64 exec, exec, s[18:19]
	v_add_u32_e32 v4, 0xffffff6c, v4
	v_cmp_eq_u32_e32 vcc, 0, v4
	v_add_u32_e32 v5, 2, v5
	s_or_b64 s[22:23], vcc, s[22:23]
	v_add_u32_e32 v3, 0x128, v3
	s_andn2_b64 exec, exec, s[22:23]
	s_cbranch_execz .LBB20_245
.LBB20_241:                             ; =>This Inner Loop Header: Depth=1
	v_or_b32_e32 v7, 1, v5
	v_cmp_le_u32_e32 vcc, v7, v2
	v_cmp_le_u32_e64 s[18:19], v5, v2
	s_and_saveexec_b64 s[24:25], s[18:19]
	s_cbranch_execz .LBB20_243
; %bb.242:                              ;   in Loop: Header=BB20_241 Depth=1
	ds_write_b32 v3, v6
.LBB20_243:                             ;   in Loop: Header=BB20_241 Depth=1
	s_or_b64 exec, exec, s[24:25]
	s_and_saveexec_b64 s[18:19], vcc
	s_cbranch_execz .LBB20_240
; %bb.244:                              ;   in Loop: Header=BB20_241 Depth=1
	ds_write_b32 v3, v6 offset:148
	s_branch .LBB20_240
.LBB20_245:
	s_or_b64 exec, exec, s[20:21]
	s_brev_b32 s18, -2
	v_lshrrev_b32_e32 v2, 24, v1
	v_mov_b32_e32 v3, 0x80
	v_cmp_ne_u32_e32 vcc, s18, v1
	v_cndmask_b32_e32 v2, v3, v2, vcc
	v_and_b32_e32 v3, 7, v2
	v_lshrrev_b32_e32 v2, 2, v2
	v_mad_u32_u24 v3, v3, 37, v0
	v_and_b32_e32 v2, 2, v2
	v_lshl_or_b32 v14, v3, 2, v2
	ds_read_u16 v12, v14
	s_waitcnt lgkmcnt(0)
	v_add_u16_e32 v2, 1, v12
	ds_write_b16 v14, v2
	s_waitcnt lgkmcnt(0)
	; wave barrier
	s_waitcnt lgkmcnt(0)
	ds_read2_b64 v[6:9], v15 offset1:1
	ds_read2_b64 v[2:5], v15 offset0:2 offset1:3
	s_waitcnt lgkmcnt(1)
	v_add_u32_e32 v18, v7, v6
	v_add3_u32 v18, v18, v8, v9
	s_waitcnt lgkmcnt(0)
	v_add3_u32 v18, v18, v2, v3
	v_add3_u32 v5, v18, v4, v5
	s_nop 1
	v_mov_b32_dpp v18, v5 row_shr:1 row_mask:0xf bank_mask:0xf
	v_cndmask_b32_e64 v18, v18, 0, s[14:15]
	v_add_u32_e32 v5, v18, v5
	s_nop 1
	v_mov_b32_dpp v18, v5 row_shr:2 row_mask:0xf bank_mask:0xf
	v_cndmask_b32_e64 v18, 0, v18, s[12:13]
	v_add_u32_e32 v5, v5, v18
	;; [unrolled: 4-line block ×4, first 2 shown]
	s_nop 1
	v_mov_b32_dpp v18, v5 row_bcast:15 row_mask:0xf bank_mask:0xf
	v_cndmask_b32_e64 v18, v18, 0, s[6:7]
	v_add_u32_e32 v5, v5, v18
	s_nop 1
	v_mov_b32_dpp v18, v5 row_bcast:31 row_mask:0xf bank_mask:0xf
	v_cndmask_b32_e64 v18, 0, v18, s[4:5]
	v_add_u32_e32 v5, v5, v18
	s_and_saveexec_b64 s[18:19], s[2:3]
	s_cbranch_execz .LBB20_247
; %bb.246:
	v_mov_b32_e32 v18, 0
	ds_write_b32 v18, v5 offset:1184
.LBB20_247:
	s_or_b64 exec, exec, s[18:19]
	ds_bpermute_b32 v18, v16, v5
	v_mov_b32_e32 v5, 0
	s_waitcnt lgkmcnt(0)
	; wave barrier
	s_waitcnt lgkmcnt(0)
	ds_read_b32 v19, v5 offset:1184
	v_cndmask_b32_e64 v18, v18, 0, s[0:1]
	s_waitcnt lgkmcnt(0)
	v_lshl_add_u32 v18, v19, 16, v18
	v_add_u32_e32 v19, v18, v6
	v_add_u32_e32 v6, v19, v7
	;; [unrolled: 1-line block ×7, first 2 shown]
	ds_write2_b64 v15, v[18:19], v[6:7] offset1:1
	ds_write2_b64 v15, v[8:9], v[2:3] offset0:2 offset1:3
	s_waitcnt lgkmcnt(0)
	; wave barrier
	s_waitcnt lgkmcnt(0)
	ds_read_u16 v2, v14
	v_mov_b32_e32 v3, 2
	v_lshlrev_b32_sdwa v3, v3, v12 dst_sel:DWORD dst_unused:UNUSED_PAD src0_sel:DWORD src1_sel:WORD_0
	s_waitcnt lgkmcnt(0)
	; wave barrier
	s_waitcnt lgkmcnt(0)
	v_lshl_add_u32 v2, v2, 2, v3
	ds_write_b32 v2, v1
	s_waitcnt lgkmcnt(0)
	; wave barrier
	s_waitcnt lgkmcnt(0)
	ds_read_b32 v8, v13
	s_waitcnt lgkmcnt(0)
	; wave barrier
	s_waitcnt lgkmcnt(0)
	s_and_saveexec_b64 s[18:19], s[16:17]
	s_cbranch_execz .LBB20_275
; %bb.248:
	s_movk_i32 s16, 0x103
	v_bfrev_b32_e32 v2, -4.0
	v_cmp_gt_u32_e32 vcc, s16, v0
	v_subb_co_u32_e64 v2, s[16:17], v2, v0, vcc
	s_mov_b32 s16, 0xbacf914d
	v_sub_u32_e32 v1, 0x103, v0
	v_mul_hi_u32 v2, v2, s16
	v_subb_co_u32_e64 v1, s[16:17], v1, v2, vcc
	v_lshrrev_b32_e32 v1, 1, v1
	v_add_u32_e32 v1, v1, v2
	v_lshrrev_b32_e32 v1, 5, v1
	v_addc_co_u32_e32 v1, vcc, 0, v1, vcc
	v_lshrrev_b32_e32 v2, 1, v1
	s_mov_b32 s26, 0
	v_add_u32_e32 v2, 1, v2
	v_cmp_lt_u32_e32 vcc, 5, v1
	s_and_saveexec_b64 s[20:21], vcc
	s_cbranch_execz .LBB20_268
; %bb.249:
	v_mov_b32_e32 v4, 0x128
	v_and_b32_e32 v3, 0xffffffc, v2
	v_lshl_add_u32 v4, v0, 2, v4
	s_mov_b64 s[22:23], 0
	v_mov_b32_e32 v6, 0
	v_mov_b32_e32 v7, v13
	s_branch .LBB20_251
.LBB20_250:                             ;   in Loop: Header=BB20_251 Depth=1
	s_or_b64 exec, exec, s[16:17]
	v_add_u32_e32 v3, -4, v3
	s_add_i32 s16, s26, 8
	v_cmp_eq_u32_e32 vcc, 0, v3
	s_add_i32 s26, s27, 2
	v_add_u32_e32 v7, 0x4a0, v7
	v_add_u32_e32 v4, 0x4a0, v4
	s_or_b64 s[22:23], vcc, s[22:23]
	v_mov_b32_e32 v5, s16
	s_andn2_b64 exec, exec, s[22:23]
	s_cbranch_execz .LBB20_267
.LBB20_251:                             ; =>This Inner Loop Header: Depth=1
	s_or_b32 s16, s26, 1
	v_cmp_le_u32_e32 vcc, s16, v1
	v_cmp_le_u32_e64 s[16:17], s26, v1
	s_and_saveexec_b64 s[24:25], s[16:17]
	s_cbranch_execz .LBB20_253
; %bb.252:                              ;   in Loop: Header=BB20_251 Depth=1
	ds_write_b32 v7, v6
.LBB20_253:                             ;   in Loop: Header=BB20_251 Depth=1
	s_or_b64 exec, exec, s[24:25]
	s_and_saveexec_b64 s[16:17], vcc
	s_cbranch_execz .LBB20_255
; %bb.254:                              ;   in Loop: Header=BB20_251 Depth=1
	ds_write_b32 v7, v6 offset:148
.LBB20_255:                             ;   in Loop: Header=BB20_251 Depth=1
	s_or_b64 exec, exec, s[16:17]
	s_add_i32 s27, s26, 2
	s_add_i32 s16, s26, 3
	v_cmp_le_u32_e32 vcc, s16, v1
	v_cmp_le_u32_e64 s[16:17], s27, v1
	s_and_saveexec_b64 s[24:25], s[16:17]
	s_cbranch_execz .LBB20_257
; %bb.256:                              ;   in Loop: Header=BB20_251 Depth=1
	ds_write_b32 v4, v6
.LBB20_257:                             ;   in Loop: Header=BB20_251 Depth=1
	s_or_b64 exec, exec, s[24:25]
	s_and_saveexec_b64 s[16:17], vcc
	s_cbranch_execz .LBB20_259
; %bb.258:                              ;   in Loop: Header=BB20_251 Depth=1
	ds_write_b32 v4, v6 offset:148
.LBB20_259:                             ;   in Loop: Header=BB20_251 Depth=1
	s_or_b64 exec, exec, s[16:17]
	s_add_i32 s28, s27, 2
	s_add_i32 s27, s27, 3
	v_cmp_le_u32_e32 vcc, s27, v1
	v_cmp_le_u32_e64 s[16:17], s28, v1
	s_and_saveexec_b64 s[24:25], s[16:17]
	s_cbranch_execz .LBB20_261
; %bb.260:                              ;   in Loop: Header=BB20_251 Depth=1
	ds_write_b32 v4, v6 offset:296
.LBB20_261:                             ;   in Loop: Header=BB20_251 Depth=1
	s_or_b64 exec, exec, s[24:25]
	s_and_saveexec_b64 s[16:17], vcc
	s_cbranch_execz .LBB20_263
; %bb.262:                              ;   in Loop: Header=BB20_251 Depth=1
	ds_write_b32 v4, v6 offset:444
.LBB20_263:                             ;   in Loop: Header=BB20_251 Depth=1
	s_or_b64 exec, exec, s[16:17]
	s_add_i32 s27, s28, 2
	s_add_i32 s28, s28, 3
	v_cmp_le_u32_e32 vcc, s28, v1
	v_cmp_le_u32_e64 s[16:17], s27, v1
	s_and_saveexec_b64 s[24:25], s[16:17]
	s_cbranch_execz .LBB20_265
; %bb.264:                              ;   in Loop: Header=BB20_251 Depth=1
	ds_write_b32 v4, v6 offset:592
.LBB20_265:                             ;   in Loop: Header=BB20_251 Depth=1
	s_or_b64 exec, exec, s[24:25]
	s_and_saveexec_b64 s[16:17], vcc
	s_cbranch_execz .LBB20_250
; %bb.266:                              ;   in Loop: Header=BB20_251 Depth=1
	ds_write_b32 v4, v6 offset:740
	s_branch .LBB20_250
.LBB20_267:
	s_or_b64 exec, exec, s[22:23]
.LBB20_268:
	s_or_b64 exec, exec, s[20:21]
	v_and_b32_e32 v3, 3, v2
	v_cmp_ne_u32_e32 vcc, 0, v3
	s_and_b64 exec, exec, vcc
	s_cbranch_execz .LBB20_275
; %bb.269:
	s_movk_i32 s16, 0x94
	v_mul_lo_u32 v2, v5, s16
	v_add3_u32 v2, v17, v2, v15
	v_mul_u32_u24_e32 v3, 0x94, v3
	s_mov_b64 s[20:21], 0
	v_mov_b32_e32 v4, 0
	s_branch .LBB20_271
.LBB20_270:                             ;   in Loop: Header=BB20_271 Depth=1
	s_or_b64 exec, exec, s[16:17]
	v_add_u32_e32 v3, 0xffffff6c, v3
	v_cmp_eq_u32_e32 vcc, 0, v3
	v_add_u32_e32 v5, 2, v5
	s_or_b64 s[20:21], vcc, s[20:21]
	v_add_u32_e32 v2, 0x128, v2
	s_andn2_b64 exec, exec, s[20:21]
	s_cbranch_execz .LBB20_275
.LBB20_271:                             ; =>This Inner Loop Header: Depth=1
	v_or_b32_e32 v6, 1, v5
	v_cmp_le_u32_e32 vcc, v6, v1
	v_cmp_le_u32_e64 s[16:17], v5, v1
	s_and_saveexec_b64 s[22:23], s[16:17]
	s_cbranch_execz .LBB20_273
; %bb.272:                              ;   in Loop: Header=BB20_271 Depth=1
	ds_write_b32 v2, v4
.LBB20_273:                             ;   in Loop: Header=BB20_271 Depth=1
	s_or_b64 exec, exec, s[22:23]
	s_and_saveexec_b64 s[16:17], vcc
	s_cbranch_execz .LBB20_270
; %bb.274:                              ;   in Loop: Header=BB20_271 Depth=1
	ds_write_b32 v2, v4 offset:148
	s_branch .LBB20_270
.LBB20_275:
	s_or_b64 exec, exec, s[18:19]
	s_brev_b32 s16, -2
	v_lshrrev_b32_e32 v1, 28, v8
	v_cmp_ne_u32_e32 vcc, s16, v8
	v_cndmask_b32_e32 v1, 8, v1, vcc
	v_and_b32_e32 v2, 7, v1
	v_lshrrev_b32_e32 v1, 2, v1
	v_mad_u32_u24 v0, v2, 37, v0
	v_and_b32_e32 v1, 2, v1
	v_lshl_or_b32 v12, v0, 2, v1
	ds_read_u16 v9, v12
	s_waitcnt lgkmcnt(0)
	v_add_u16_e32 v0, 1, v9
	ds_write_b16 v12, v0
	s_waitcnt lgkmcnt(0)
	; wave barrier
	s_waitcnt lgkmcnt(0)
	ds_read2_b64 v[4:7], v15 offset1:1
	ds_read2_b64 v[0:3], v15 offset0:2 offset1:3
	s_waitcnt lgkmcnt(1)
	v_add_u32_e32 v14, v5, v4
	v_add3_u32 v14, v14, v6, v7
	s_waitcnt lgkmcnt(0)
	v_add3_u32 v14, v14, v0, v1
	v_add3_u32 v3, v14, v2, v3
	s_nop 1
	v_mov_b32_dpp v14, v3 row_shr:1 row_mask:0xf bank_mask:0xf
	v_cndmask_b32_e64 v14, v14, 0, s[14:15]
	v_add_u32_e32 v3, v14, v3
	s_nop 1
	v_mov_b32_dpp v14, v3 row_shr:2 row_mask:0xf bank_mask:0xf
	v_cndmask_b32_e64 v14, 0, v14, s[12:13]
	v_add_u32_e32 v3, v3, v14
	;; [unrolled: 4-line block ×4, first 2 shown]
	s_nop 1
	v_mov_b32_dpp v14, v3 row_bcast:15 row_mask:0xf bank_mask:0xf
	v_cndmask_b32_e64 v14, v14, 0, s[6:7]
	v_add_u32_e32 v3, v3, v14
	s_nop 1
	v_mov_b32_dpp v14, v3 row_bcast:31 row_mask:0xf bank_mask:0xf
	v_cndmask_b32_e64 v14, 0, v14, s[4:5]
	v_add_u32_e32 v3, v3, v14
	s_and_saveexec_b64 s[4:5], s[2:3]
	s_cbranch_execz .LBB20_277
; %bb.276:
	v_mov_b32_e32 v14, 0
	ds_write_b32 v14, v3 offset:1184
.LBB20_277:
	s_or_b64 exec, exec, s[4:5]
	ds_bpermute_b32 v3, v16, v3
	v_mov_b32_e32 v14, 0
	s_waitcnt lgkmcnt(0)
	; wave barrier
	s_waitcnt lgkmcnt(0)
	ds_read_b32 v14, v14 offset:1184
	v_cndmask_b32_e64 v3, v3, 0, s[0:1]
	s_waitcnt lgkmcnt(0)
	v_lshl_add_u32 v16, v14, 16, v3
	v_add_u32_e32 v17, v16, v4
	v_add_u32_e32 v4, v17, v5
	;; [unrolled: 1-line block ×7, first 2 shown]
	ds_write2_b64 v15, v[16:17], v[4:5] offset1:1
	ds_write2_b64 v15, v[6:7], v[0:1] offset0:2 offset1:3
	s_waitcnt lgkmcnt(0)
	; wave barrier
	s_waitcnt lgkmcnt(0)
	ds_read_u16 v0, v12
	v_mov_b32_e32 v1, 2
	v_lshlrev_b32_sdwa v1, v1, v9 dst_sel:DWORD dst_unused:UNUSED_PAD src0_sel:DWORD src1_sel:WORD_0
	s_waitcnt lgkmcnt(0)
	; wave barrier
	s_waitcnt lgkmcnt(0)
	v_lshl_add_u32 v0, v0, 2, v1
	ds_write_b32 v0, v8
	s_waitcnt lgkmcnt(0)
	; wave barrier
.LBB20_278:
	s_waitcnt lgkmcnt(0)
	ds_read_b32 v0, v13
	v_bfrev_b32_e32 v1, 1
	s_waitcnt lgkmcnt(0)
	v_cmp_lt_i32_e32 vcc, -1, v0
	v_cndmask_b32_e64 v1, v1, -1, vcc
	v_xor_b32_e32 v0, v1, v0
	global_store_dword v[10:11], v0, off
	s_endpgm
	.section	.rodata,"a",@progbits
	.p2align	6, 0x0
	.amdhsa_kernel _Z15sort_key_kernelILj37ELj1ELb0ELb0EfEvPT3_jj
		.amdhsa_group_segment_fixed_size 1200
		.amdhsa_private_segment_fixed_size 0
		.amdhsa_kernarg_size 16
		.amdhsa_user_sgpr_count 6
		.amdhsa_user_sgpr_private_segment_buffer 1
		.amdhsa_user_sgpr_dispatch_ptr 0
		.amdhsa_user_sgpr_queue_ptr 0
		.amdhsa_user_sgpr_kernarg_segment_ptr 1
		.amdhsa_user_sgpr_dispatch_id 0
		.amdhsa_user_sgpr_flat_scratch_init 0
		.amdhsa_user_sgpr_kernarg_preload_length 0
		.amdhsa_user_sgpr_kernarg_preload_offset 0
		.amdhsa_user_sgpr_private_segment_size 0
		.amdhsa_uses_dynamic_stack 0
		.amdhsa_system_sgpr_private_segment_wavefront_offset 0
		.amdhsa_system_sgpr_workgroup_id_x 1
		.amdhsa_system_sgpr_workgroup_id_y 0
		.amdhsa_system_sgpr_workgroup_id_z 0
		.amdhsa_system_sgpr_workgroup_info 0
		.amdhsa_system_vgpr_workitem_id 0
		.amdhsa_next_free_vgpr 30
		.amdhsa_next_free_sgpr 40
		.amdhsa_accum_offset 32
		.amdhsa_reserve_vcc 1
		.amdhsa_reserve_flat_scratch 0
		.amdhsa_float_round_mode_32 0
		.amdhsa_float_round_mode_16_64 0
		.amdhsa_float_denorm_mode_32 3
		.amdhsa_float_denorm_mode_16_64 3
		.amdhsa_dx10_clamp 1
		.amdhsa_ieee_mode 1
		.amdhsa_fp16_overflow 0
		.amdhsa_tg_split 0
		.amdhsa_exception_fp_ieee_invalid_op 0
		.amdhsa_exception_fp_denorm_src 0
		.amdhsa_exception_fp_ieee_div_zero 0
		.amdhsa_exception_fp_ieee_overflow 0
		.amdhsa_exception_fp_ieee_underflow 0
		.amdhsa_exception_fp_ieee_inexact 0
		.amdhsa_exception_int_div_zero 0
	.end_amdhsa_kernel
	.section	.text._Z15sort_key_kernelILj37ELj1ELb0ELb0EfEvPT3_jj,"axG",@progbits,_Z15sort_key_kernelILj37ELj1ELb0ELb0EfEvPT3_jj,comdat
.Lfunc_end20:
	.size	_Z15sort_key_kernelILj37ELj1ELb0ELb0EfEvPT3_jj, .Lfunc_end20-_Z15sort_key_kernelILj37ELj1ELb0ELb0EfEvPT3_jj
                                        ; -- End function
	.section	.AMDGPU.csdata,"",@progbits
; Kernel info:
; codeLenInByte = 9920
; NumSgprs: 44
; NumVgprs: 30
; NumAgprs: 0
; TotalNumVgprs: 30
; ScratchSize: 0
; MemoryBound: 0
; FloatMode: 240
; IeeeMode: 1
; LDSByteSize: 1200 bytes/workgroup (compile time only)
; SGPRBlocks: 5
; VGPRBlocks: 3
; NumSGPRsForWavesPerEU: 44
; NumVGPRsForWavesPerEU: 30
; AccumOffset: 32
; Occupancy: 8
; WaveLimiterHint : 0
; COMPUTE_PGM_RSRC2:SCRATCH_EN: 0
; COMPUTE_PGM_RSRC2:USER_SGPR: 6
; COMPUTE_PGM_RSRC2:TRAP_HANDLER: 0
; COMPUTE_PGM_RSRC2:TGID_X_EN: 1
; COMPUTE_PGM_RSRC2:TGID_Y_EN: 0
; COMPUTE_PGM_RSRC2:TGID_Z_EN: 0
; COMPUTE_PGM_RSRC2:TIDIG_COMP_CNT: 0
; COMPUTE_PGM_RSRC3_GFX90A:ACCUM_OFFSET: 7
; COMPUTE_PGM_RSRC3_GFX90A:TG_SPLIT: 0
	.section	.text._Z15sort_key_kernelILj65ELj1ELb0ELb0EdEvPT3_jj,"axG",@progbits,_Z15sort_key_kernelILj65ELj1ELb0ELb0EdEvPT3_jj,comdat
	.protected	_Z15sort_key_kernelILj65ELj1ELb0ELb0EdEvPT3_jj ; -- Begin function _Z15sort_key_kernelILj65ELj1ELb0ELb0EdEvPT3_jj
	.globl	_Z15sort_key_kernelILj65ELj1ELb0ELb0EdEvPT3_jj
	.p2align	8
	.type	_Z15sort_key_kernelILj65ELj1ELb0ELb0EdEvPT3_jj,@function
_Z15sort_key_kernelILj65ELj1ELb0ELb0EdEvPT3_jj: ; @_Z15sort_key_kernelILj65ELj1ELb0ELb0EdEvPT3_jj
; %bb.0:
	s_load_dwordx4 s[28:31], s[4:5], 0x0
	s_mul_i32 s0, s6, 0x41
	s_mov_b32 s1, 0
	s_lshl_b64 s[0:1], s[0:1], 3
	v_lshlrev_b32_e32 v1, 3, v0
	s_waitcnt lgkmcnt(0)
	s_add_u32 s26, s28, s0
	s_addc_u32 s27, s29, s1
	global_load_dwordx2 v[2:3], v1, s[26:27]
	v_mbcnt_lo_u32_b32 v4, -1, 0
	s_movk_i32 s6, 0x1c7
	v_cmp_gt_u32_e32 vcc, 64, v0
	v_mov_b32_e32 v5, 0x1c7
	v_mbcnt_hi_u32_b32 v4, -1, v4
	v_cndmask_b32_e64 v6, 64, 63, vcc
	v_cmp_gt_u32_e32 vcc, s6, v0
	s_mov_b32 s13, 0x3f03f04
	v_subb_co_u32_e64 v5, s[6:7], v5, v0, vcc
	v_cmp_eq_u32_e64 s[8:9], v6, v0
	v_add_u32_e32 v6, -1, v4
	v_and_b32_e32 v11, 64, v4
	v_lshrrev_b32_e32 v7, 4, v0
	v_mul_hi_u32 v5, v5, s13
	v_cmp_lt_i32_e64 s[22:23], v6, v11
	v_and_b32_e32 v9, 15, v4
	v_and_b32_e32 v10, 16, v4
	v_cmp_lt_u32_e64 s[6:7], 31, v4
	v_cmp_eq_u32_e64 s[10:11], 0, v4
	v_and_b32_e32 v21, 4, v7
	v_and_b32_e32 v7, 1, v4
	v_cndmask_b32_e64 v4, v6, v4, s[22:23]
	v_addc_co_u32_e32 v14, vcc, 0, v5, vcc
	s_cmp_eq_u32 s30, 0
	v_cmp_eq_u32_e64 s[20:21], 0, v10
	v_lshlrev_b32_e32 v22, 2, v4
	v_mov_b32_e32 v4, s27
	v_add_co_u32_e32 v10, vcc, s26, v1
	s_cselect_b64 s[26:27], -1, 0
	s_cmp_eq_u32 s31, 64
	s_cselect_b64 s[36:37], -1, 0
	v_addc_co_u32_e32 v11, vcc, 0, v4, vcc
	s_and_b64 s[26:27], s[26:27], s[36:37]
	v_bfrev_b32_e32 v23, 1
	s_and_b64 vcc, exec, s[26:27]
	s_movk_i32 s0, 0x208
	s_movk_i32 s12, 0xffe4
	v_lshlrev_b32_e32 v15, 5, v0
	v_mul_i32_i24_e32 v8, 0xffffffe4, v0
	s_mov_b64 s[28:29], -1
	s_mov_b32 s34, -1
	v_cmp_gt_u32_e64 s[0:1], s0, v0
	v_cmp_lt_u32_e64 s[2:3], 63, v0
	v_cmp_gt_u32_e64 s[4:5], 2, v0
	v_lshlrev_b32_e32 v13, 2, v0
	v_mad_i32_i24 v20, v0, s12, v15
	v_lshl_add_u32 v12, v0, 5, v8
	v_cmp_eq_u32_e64 s[12:13], 0, v9
	v_cmp_lt_u32_e64 s[14:15], 1, v9
	v_cmp_lt_u32_e64 s[16:17], 3, v9
	;; [unrolled: 1-line block ×3, first 2 shown]
	v_cmp_eq_u32_e64 s[22:23], 0, v7
	v_lshrrev_b32_e32 v24, 1, v14
	v_cmp_lt_u32_e64 s[24:25], 5, v14
	s_waitcnt vmcnt(0)
	v_cmp_lt_i64_e64 s[26:27], -1, v[2:3]
	v_cndmask_b32_e64 v1, -1, v23, s[26:27]
	v_ashrrev_i32_e32 v4, 31, v3
	v_xor_b32_e32 v17, v1, v3
	v_xor_b32_e32 v16, v4, v2
	s_cbranch_vccnz .LBB21_40
; %bb.1:
	v_add_u32_e32 v2, 1, v24
	v_and_b32_e32 v3, 3, v2
	v_mov_b32_e32 v1, v14
	v_and_b32_e32 v25, 12, v2
	v_cmp_ne_u32_e64 s[26:27], 0, v3
	v_add_u32_e32 v26, 0x208, v13
	s_movk_i32 s33, 0x104
	v_mul_u32_u24_e32 v27, 0x104, v3
	v_mov_b32_e32 v28, 0
	s_brev_b32 s35, -2
	v_mov_b32_e32 v29, 3
	v_pk_mov_b32 v[2:3], v[16:17], v[16:17] op_sel:[0,1]
	s_branch .LBB21_3
.LBB21_2:                               ;   in Loop: Header=BB21_3 Depth=1
	v_add_u32_e32 v2, v20, v13
	s_barrier
	ds_write_b64 v4, v[18:19]
	s_waitcnt lgkmcnt(0)
	s_barrier
	ds_read_b64 v[2:3], v2
	s_waitcnt lgkmcnt(0)
	s_barrier
	s_cbranch_execz .LBB21_39
.LBB21_3:                               ; =>This Loop Header: Depth=1
                                        ;     Child Loop BB21_7 Depth 2
                                        ;     Child Loop BB21_27 Depth 2
	v_pk_mov_b32 v[18:19], v[2:3], v[2:3] op_sel:[0,1]
	s_and_saveexec_b64 s[36:37], s[0:1]
	s_cbranch_execz .LBB21_31
; %bb.4:                                ;   in Loop: Header=BB21_3 Depth=1
	v_mov_b32_e32 v5, 0
	s_and_saveexec_b64 s[38:39], s[24:25]
	s_cbranch_execz .LBB21_24
; %bb.5:                                ;   in Loop: Header=BB21_3 Depth=1
	s_mov_b32 s44, 0
	s_mov_b64 s[40:41], 0
	v_mov_b32_e32 v2, v25
	v_mov_b32_e32 v3, v26
	v_mov_b32_e32 v4, v20
	s_branch .LBB21_7
.LBB21_6:                               ;   in Loop: Header=BB21_7 Depth=2
	s_or_b64 exec, exec, s[28:29]
	v_add_u32_e32 v2, -4, v2
	s_add_i32 s28, s44, 8
	v_cmp_eq_u32_e32 vcc, 0, v2
	s_add_i32 s44, s45, 2
	v_add_u32_e32 v4, 0x820, v4
	v_add_u32_e32 v3, 0x820, v3
	s_or_b64 s[40:41], vcc, s[40:41]
	v_mov_b32_e32 v5, s28
	s_andn2_b64 exec, exec, s[40:41]
	s_cbranch_execz .LBB21_23
.LBB21_7:                               ;   Parent Loop BB21_3 Depth=1
                                        ; =>  This Inner Loop Header: Depth=2
	s_or_b32 s28, s44, 1
	v_cmp_le_u32_e32 vcc, s28, v1
	v_cmp_le_u32_e64 s[28:29], s44, v14
	s_and_saveexec_b64 s[42:43], s[28:29]
	s_cbranch_execz .LBB21_9
; %bb.8:                                ;   in Loop: Header=BB21_7 Depth=2
	ds_write_b32 v4, v28
.LBB21_9:                               ;   in Loop: Header=BB21_7 Depth=2
	s_or_b64 exec, exec, s[42:43]
	s_and_saveexec_b64 s[28:29], vcc
	s_cbranch_execz .LBB21_11
; %bb.10:                               ;   in Loop: Header=BB21_7 Depth=2
	ds_write_b32 v4, v28 offset:260
.LBB21_11:                              ;   in Loop: Header=BB21_7 Depth=2
	s_or_b64 exec, exec, s[28:29]
	s_add_i32 s45, s44, 2
	s_add_i32 s28, s44, 3
	v_cmp_le_u32_e32 vcc, s28, v1
	v_cmp_le_u32_e64 s[28:29], s45, v14
	s_and_saveexec_b64 s[42:43], s[28:29]
	s_cbranch_execz .LBB21_13
; %bb.12:                               ;   in Loop: Header=BB21_7 Depth=2
	ds_write_b32 v3, v28
.LBB21_13:                              ;   in Loop: Header=BB21_7 Depth=2
	s_or_b64 exec, exec, s[42:43]
	s_and_saveexec_b64 s[28:29], vcc
	s_cbranch_execz .LBB21_15
; %bb.14:                               ;   in Loop: Header=BB21_7 Depth=2
	ds_write_b32 v3, v28 offset:260
.LBB21_15:                              ;   in Loop: Header=BB21_7 Depth=2
	s_or_b64 exec, exec, s[28:29]
	s_add_i32 s46, s45, 2
	s_add_i32 s45, s45, 3
	v_cmp_le_u32_e32 vcc, s45, v1
	v_cmp_le_u32_e64 s[28:29], s46, v14
	s_and_saveexec_b64 s[42:43], s[28:29]
	s_cbranch_execz .LBB21_17
; %bb.16:                               ;   in Loop: Header=BB21_7 Depth=2
	ds_write_b32 v3, v28 offset:520
.LBB21_17:                              ;   in Loop: Header=BB21_7 Depth=2
	s_or_b64 exec, exec, s[42:43]
	s_and_saveexec_b64 s[28:29], vcc
	s_cbranch_execz .LBB21_19
; %bb.18:                               ;   in Loop: Header=BB21_7 Depth=2
	ds_write_b32 v3, v28 offset:780
.LBB21_19:                              ;   in Loop: Header=BB21_7 Depth=2
	s_or_b64 exec, exec, s[28:29]
	s_add_i32 s45, s46, 2
	s_add_i32 s46, s46, 3
	v_cmp_le_u32_e32 vcc, s46, v1
	v_cmp_le_u32_e64 s[28:29], s45, v14
	s_and_saveexec_b64 s[42:43], s[28:29]
	s_cbranch_execz .LBB21_21
; %bb.20:                               ;   in Loop: Header=BB21_7 Depth=2
	ds_write_b32 v3, v28 offset:1040
.LBB21_21:                              ;   in Loop: Header=BB21_7 Depth=2
	s_or_b64 exec, exec, s[42:43]
	s_and_saveexec_b64 s[28:29], vcc
	s_cbranch_execz .LBB21_6
; %bb.22:                               ;   in Loop: Header=BB21_7 Depth=2
	ds_write_b32 v3, v28 offset:1300
	s_branch .LBB21_6
.LBB21_23:                              ;   in Loop: Header=BB21_3 Depth=1
	s_or_b64 exec, exec, s[40:41]
.LBB21_24:                              ;   in Loop: Header=BB21_3 Depth=1
	s_or_b64 exec, exec, s[38:39]
	s_and_b64 exec, exec, s[26:27]
	s_cbranch_execz .LBB21_31
; %bb.25:                               ;   in Loop: Header=BB21_3 Depth=1
	v_mad_u64_u32 v[2:3], s[28:29], v5, s33, v[12:13]
	s_mov_b64 s[38:39], 0
	v_mov_b32_e32 v3, v27
	s_branch .LBB21_27
.LBB21_26:                              ;   in Loop: Header=BB21_27 Depth=2
	s_or_b64 exec, exec, s[28:29]
	v_add_u32_e32 v3, 0xfffffefc, v3
	v_cmp_eq_u32_e32 vcc, 0, v3
	v_add_u32_e32 v5, 2, v5
	s_or_b64 s[38:39], vcc, s[38:39]
	v_add_u32_e32 v2, 0x208, v2
	s_andn2_b64 exec, exec, s[38:39]
	s_cbranch_execz .LBB21_31
.LBB21_27:                              ;   Parent Loop BB21_3 Depth=1
                                        ; =>  This Inner Loop Header: Depth=2
	v_or_b32_e32 v4, 1, v5
	v_cmp_le_u32_e32 vcc, v4, v1
	v_cmp_le_u32_e64 s[28:29], v5, v14
	s_and_saveexec_b64 s[40:41], s[28:29]
	s_cbranch_execz .LBB21_29
; %bb.28:                               ;   in Loop: Header=BB21_27 Depth=2
	ds_write_b32 v2, v28
.LBB21_29:                              ;   in Loop: Header=BB21_27 Depth=2
	s_or_b64 exec, exec, s[40:41]
	s_and_saveexec_b64 s[28:29], vcc
	s_cbranch_execz .LBB21_26
; %bb.30:                               ;   in Loop: Header=BB21_27 Depth=2
	ds_write_b32 v2, v28 offset:260
	s_branch .LBB21_26
.LBB21_31:                              ;   in Loop: Header=BB21_3 Depth=1
	s_or_b64 exec, exec, s[36:37]
	v_cmp_ne_u64_e32 vcc, s[34:35], v[18:19]
	s_sub_i32 s28, s31, s30
	v_cndmask_b32_e32 v3, v23, v19, vcc
	v_cndmask_b32_e32 v2, 0, v18, vcc
	s_min_u32 s28, s28, 4
	v_lshrrev_b64 v[2:3], s30, v[2:3]
	v_bfe_u32 v2, v2, 0, s28
	v_and_b32_e32 v3, 7, v2
	v_mul_u32_u24_e32 v3, 0x41, v3
	v_lshrrev_b32_e32 v2, 3, v2
	v_add_lshl_u32 v3, v3, v0, 1
	v_add_lshl_u32 v31, v3, v2, 1
	ds_read_u16 v30, v31
	s_waitcnt lgkmcnt(0)
	v_add_u16_e32 v2, 1, v30
	ds_write_b16 v31, v2
	s_waitcnt lgkmcnt(0)
	s_barrier
	ds_read2_b64 v[6:9], v15 offset1:1
	ds_read2_b64 v[2:5], v15 offset0:2 offset1:3
	s_waitcnt lgkmcnt(1)
	v_add_u32_e32 v32, v7, v6
	v_add3_u32 v32, v32, v8, v9
	s_waitcnt lgkmcnt(0)
	v_add3_u32 v32, v32, v2, v3
	v_add3_u32 v5, v32, v4, v5
	s_nop 1
	v_mov_b32_dpp v32, v5 row_shr:1 row_mask:0xf bank_mask:0xf
	v_cndmask_b32_e64 v32, v32, 0, s[12:13]
	v_add_u32_e32 v5, v32, v5
	s_nop 1
	v_mov_b32_dpp v32, v5 row_shr:2 row_mask:0xf bank_mask:0xf
	v_cndmask_b32_e64 v32, 0, v32, s[14:15]
	v_add_u32_e32 v5, v5, v32
	;; [unrolled: 4-line block ×4, first 2 shown]
	s_nop 1
	v_mov_b32_dpp v32, v5 row_bcast:15 row_mask:0xf bank_mask:0xf
	v_cndmask_b32_e64 v32, v32, 0, s[20:21]
	v_add_u32_e32 v5, v5, v32
	s_nop 1
	v_mov_b32_dpp v32, v5 row_bcast:31 row_mask:0xf bank_mask:0xf
	v_cndmask_b32_e64 v32, 0, v32, s[6:7]
	v_add_u32_e32 v5, v5, v32
	s_and_saveexec_b64 s[28:29], s[8:9]
	s_cbranch_execz .LBB21_33
; %bb.32:                               ;   in Loop: Header=BB21_3 Depth=1
	ds_write_b32 v21, v5 offset:2080
.LBB21_33:                              ;   in Loop: Header=BB21_3 Depth=1
	s_or_b64 exec, exec, s[28:29]
	s_waitcnt lgkmcnt(0)
	s_barrier
	s_and_saveexec_b64 s[28:29], s[4:5]
	s_cbranch_execz .LBB21_35
; %bb.34:                               ;   in Loop: Header=BB21_3 Depth=1
	ds_read_b32 v32, v20 offset:2080
	s_waitcnt lgkmcnt(0)
	s_nop 0
	v_mov_b32_dpp v33, v32 row_shr:1 row_mask:0xf bank_mask:0xf
	v_cndmask_b32_e64 v33, v33, 0, s[22:23]
	v_add_u32_e32 v32, v33, v32
	ds_write_b32 v20, v32 offset:2080
.LBB21_35:                              ;   in Loop: Header=BB21_3 Depth=1
	s_or_b64 exec, exec, s[28:29]
	v_mov_b32_e32 v32, 0
	s_waitcnt lgkmcnt(0)
	s_barrier
	s_and_saveexec_b64 s[28:29], s[2:3]
	s_cbranch_execz .LBB21_37
; %bb.36:                               ;   in Loop: Header=BB21_3 Depth=1
	ds_read_b32 v32, v21 offset:2076
.LBB21_37:                              ;   in Loop: Header=BB21_3 Depth=1
	s_or_b64 exec, exec, s[28:29]
	s_waitcnt lgkmcnt(0)
	v_add_u32_e32 v5, v32, v5
	ds_bpermute_b32 v5, v22, v5
	ds_read_b32 v33, v28 offset:2084
	s_add_i32 s30, s30, 4
	s_cmp_ge_u32 s30, s31
	s_waitcnt lgkmcnt(1)
	v_cndmask_b32_e64 v5, v5, v32, s[10:11]
	s_waitcnt lgkmcnt(0)
	v_lshl_add_u32 v32, v33, 16, v5
	v_add_u32_e32 v33, v32, v6
	v_add_u32_e32 v6, v33, v7
	;; [unrolled: 1-line block ×7, first 2 shown]
	ds_write2_b64 v15, v[32:33], v[6:7] offset1:1
	ds_write2_b64 v15, v[8:9], v[2:3] offset0:2 offset1:3
	s_waitcnt lgkmcnt(0)
	s_barrier
	ds_read_u16 v2, v31
	v_lshlrev_b32_sdwa v3, v29, v30 dst_sel:DWORD dst_unused:UNUSED_PAD src0_sel:DWORD src1_sel:WORD_0
	s_waitcnt lgkmcnt(0)
	v_lshl_add_u32 v4, v2, 3, v3
	s_cbranch_scc0 .LBB21_2
; %bb.38:
                                        ; implicit-def: $vgpr2_vgpr3
.LBB21_39:
	s_mov_b64 s[28:29], 0
	s_barrier
	ds_write_b64 v4, v[18:19]
	s_waitcnt lgkmcnt(0)
	s_barrier
.LBB21_40:
	s_and_b64 vcc, exec, s[28:29]
	s_cbranch_vccz .LBB21_80
; %bb.41:
	v_add_u32_e32 v2, 1, v24
	v_and_b32_e32 v3, 3, v2
	s_mov_b32 s30, -1
	v_mov_b32_e32 v1, v14
	v_cmp_lt_u32_e64 s[24:25], 5, v14
	v_and_b32_e32 v23, 12, v2
	s_mov_b32 s33, 0
	v_cmp_ne_u32_e64 s[26:27], 0, v3
	v_add_u32_e32 v24, 0x208, v13
	s_movk_i32 s42, 0x104
	v_mul_u32_u24_e32 v25, 0x104, v3
	v_mov_b32_e32 v26, 0
	s_brev_b32 s31, -2
	v_bfrev_b32_e32 v27, 1
	s_movk_i32 s43, 0x41
	s_branch .LBB21_43
.LBB21_42:                              ;   in Loop: Header=BB21_43 Depth=1
	v_lshlrev_b32_e32 v3, 3, v2
	s_barrier
	ds_write_b64 v3, v[18:19]
	v_add_u32_e32 v3, v20, v13
	s_waitcnt lgkmcnt(0)
	s_barrier
	ds_read_b64 v[16:17], v3
	s_add_i32 s33, s33, 4
	s_waitcnt lgkmcnt(0)
	s_barrier
	s_cbranch_execz .LBB21_79
.LBB21_43:                              ; =>This Loop Header: Depth=1
                                        ;     Child Loop BB21_47 Depth 2
                                        ;     Child Loop BB21_67 Depth 2
	v_pk_mov_b32 v[18:19], v[16:17], v[16:17] op_sel:[0,1]
	s_and_saveexec_b64 s[34:35], s[0:1]
	s_cbranch_execz .LBB21_71
; %bb.44:                               ;   in Loop: Header=BB21_43 Depth=1
	v_mov_b32_e32 v5, 0
	s_and_saveexec_b64 s[36:37], s[24:25]
	s_cbranch_execz .LBB21_64
; %bb.45:                               ;   in Loop: Header=BB21_43 Depth=1
	s_mov_b32 s44, 0
	s_mov_b64 s[38:39], 0
	v_mov_b32_e32 v2, v23
	v_mov_b32_e32 v3, v24
	;; [unrolled: 1-line block ×3, first 2 shown]
	s_branch .LBB21_47
.LBB21_46:                              ;   in Loop: Header=BB21_47 Depth=2
	s_or_b64 exec, exec, s[28:29]
	v_add_u32_e32 v2, -4, v2
	s_add_i32 s28, s44, 8
	v_cmp_eq_u32_e32 vcc, 0, v2
	s_add_i32 s44, s45, 2
	v_add_u32_e32 v4, 0x820, v4
	v_add_u32_e32 v3, 0x820, v3
	s_or_b64 s[38:39], vcc, s[38:39]
	v_mov_b32_e32 v5, s28
	s_andn2_b64 exec, exec, s[38:39]
	s_cbranch_execz .LBB21_63
.LBB21_47:                              ;   Parent Loop BB21_43 Depth=1
                                        ; =>  This Inner Loop Header: Depth=2
	s_or_b32 s28, s44, 1
	v_cmp_le_u32_e32 vcc, s28, v1
	v_cmp_le_u32_e64 s[28:29], s44, v14
	s_and_saveexec_b64 s[40:41], s[28:29]
	s_cbranch_execz .LBB21_49
; %bb.48:                               ;   in Loop: Header=BB21_47 Depth=2
	ds_write_b32 v4, v26
.LBB21_49:                              ;   in Loop: Header=BB21_47 Depth=2
	s_or_b64 exec, exec, s[40:41]
	s_and_saveexec_b64 s[28:29], vcc
	s_cbranch_execz .LBB21_51
; %bb.50:                               ;   in Loop: Header=BB21_47 Depth=2
	ds_write_b32 v4, v26 offset:260
.LBB21_51:                              ;   in Loop: Header=BB21_47 Depth=2
	s_or_b64 exec, exec, s[28:29]
	s_add_i32 s45, s44, 2
	s_add_i32 s28, s44, 3
	v_cmp_le_u32_e32 vcc, s28, v1
	v_cmp_le_u32_e64 s[28:29], s45, v14
	s_and_saveexec_b64 s[40:41], s[28:29]
	s_cbranch_execz .LBB21_53
; %bb.52:                               ;   in Loop: Header=BB21_47 Depth=2
	ds_write_b32 v3, v26
.LBB21_53:                              ;   in Loop: Header=BB21_47 Depth=2
	s_or_b64 exec, exec, s[40:41]
	s_and_saveexec_b64 s[28:29], vcc
	s_cbranch_execz .LBB21_55
; %bb.54:                               ;   in Loop: Header=BB21_47 Depth=2
	ds_write_b32 v3, v26 offset:260
.LBB21_55:                              ;   in Loop: Header=BB21_47 Depth=2
	s_or_b64 exec, exec, s[28:29]
	s_add_i32 s46, s45, 2
	s_add_i32 s45, s45, 3
	v_cmp_le_u32_e32 vcc, s45, v1
	v_cmp_le_u32_e64 s[28:29], s46, v14
	s_and_saveexec_b64 s[40:41], s[28:29]
	s_cbranch_execz .LBB21_57
; %bb.56:                               ;   in Loop: Header=BB21_47 Depth=2
	ds_write_b32 v3, v26 offset:520
.LBB21_57:                              ;   in Loop: Header=BB21_47 Depth=2
	s_or_b64 exec, exec, s[40:41]
	s_and_saveexec_b64 s[28:29], vcc
	s_cbranch_execz .LBB21_59
; %bb.58:                               ;   in Loop: Header=BB21_47 Depth=2
	ds_write_b32 v3, v26 offset:780
.LBB21_59:                              ;   in Loop: Header=BB21_47 Depth=2
	s_or_b64 exec, exec, s[28:29]
	s_add_i32 s45, s46, 2
	s_add_i32 s46, s46, 3
	v_cmp_le_u32_e32 vcc, s46, v1
	v_cmp_le_u32_e64 s[28:29], s45, v14
	s_and_saveexec_b64 s[40:41], s[28:29]
	s_cbranch_execz .LBB21_61
; %bb.60:                               ;   in Loop: Header=BB21_47 Depth=2
	ds_write_b32 v3, v26 offset:1040
.LBB21_61:                              ;   in Loop: Header=BB21_47 Depth=2
	s_or_b64 exec, exec, s[40:41]
	s_and_saveexec_b64 s[28:29], vcc
	s_cbranch_execz .LBB21_46
; %bb.62:                               ;   in Loop: Header=BB21_47 Depth=2
	ds_write_b32 v3, v26 offset:1300
	s_branch .LBB21_46
.LBB21_63:                              ;   in Loop: Header=BB21_43 Depth=1
	s_or_b64 exec, exec, s[38:39]
.LBB21_64:                              ;   in Loop: Header=BB21_43 Depth=1
	s_or_b64 exec, exec, s[36:37]
	s_and_b64 exec, exec, s[26:27]
	s_cbranch_execz .LBB21_71
; %bb.65:                               ;   in Loop: Header=BB21_43 Depth=1
	v_mad_u64_u32 v[2:3], s[28:29], v5, s42, v[12:13]
	s_mov_b64 s[36:37], 0
	v_mov_b32_e32 v3, v25
	s_branch .LBB21_67
.LBB21_66:                              ;   in Loop: Header=BB21_67 Depth=2
	s_or_b64 exec, exec, s[28:29]
	v_add_u32_e32 v3, 0xfffffefc, v3
	v_cmp_eq_u32_e32 vcc, 0, v3
	v_add_u32_e32 v5, 2, v5
	s_or_b64 s[36:37], vcc, s[36:37]
	v_add_u32_e32 v2, 0x208, v2
	s_andn2_b64 exec, exec, s[36:37]
	s_cbranch_execz .LBB21_71
.LBB21_67:                              ;   Parent Loop BB21_43 Depth=1
                                        ; =>  This Inner Loop Header: Depth=2
	v_or_b32_e32 v4, 1, v5
	v_cmp_le_u32_e32 vcc, v4, v1
	v_cmp_le_u32_e64 s[28:29], v5, v14
	s_and_saveexec_b64 s[38:39], s[28:29]
	s_cbranch_execz .LBB21_69
; %bb.68:                               ;   in Loop: Header=BB21_67 Depth=2
	ds_write_b32 v2, v26
.LBB21_69:                              ;   in Loop: Header=BB21_67 Depth=2
	s_or_b64 exec, exec, s[38:39]
	s_and_saveexec_b64 s[28:29], vcc
	s_cbranch_execz .LBB21_66
; %bb.70:                               ;   in Loop: Header=BB21_67 Depth=2
	ds_write_b32 v2, v26 offset:260
	s_branch .LBB21_66
.LBB21_71:                              ;   in Loop: Header=BB21_43 Depth=1
	s_or_b64 exec, exec, s[34:35]
	v_cmp_ne_u64_e32 vcc, s[30:31], v[18:19]
	v_cndmask_b32_e32 v3, v27, v19, vcc
	v_cndmask_b32_e32 v2, 0, v18, vcc
	v_lshrrev_b64 v[2:3], s33, v[2:3]
	v_and_b32_e32 v3, 7, v2
	v_lshrrev_b32_e32 v2, 2, v2
	v_mad_u32_u24 v3, v3, s43, v0
	v_and_b32_e32 v2, 2, v2
	v_lshl_or_b32 v17, v3, 2, v2
	ds_read_u16 v16, v17
	s_waitcnt lgkmcnt(0)
	v_add_u16_e32 v2, 1, v16
	ds_write_b16 v17, v2
	s_waitcnt lgkmcnt(0)
	s_barrier
	ds_read2_b64 v[6:9], v15 offset1:1
	ds_read2_b64 v[2:5], v15 offset0:2 offset1:3
	s_waitcnt lgkmcnt(1)
	v_add_u32_e32 v28, v7, v6
	v_add3_u32 v28, v28, v8, v9
	s_waitcnt lgkmcnt(0)
	v_add3_u32 v28, v28, v2, v3
	v_add3_u32 v5, v28, v4, v5
	s_nop 1
	v_mov_b32_dpp v28, v5 row_shr:1 row_mask:0xf bank_mask:0xf
	v_cndmask_b32_e64 v28, v28, 0, s[12:13]
	v_add_u32_e32 v5, v28, v5
	s_nop 1
	v_mov_b32_dpp v28, v5 row_shr:2 row_mask:0xf bank_mask:0xf
	v_cndmask_b32_e64 v28, 0, v28, s[14:15]
	v_add_u32_e32 v5, v5, v28
	;; [unrolled: 4-line block ×4, first 2 shown]
	s_nop 1
	v_mov_b32_dpp v28, v5 row_bcast:15 row_mask:0xf bank_mask:0xf
	v_cndmask_b32_e64 v28, v28, 0, s[20:21]
	v_add_u32_e32 v5, v5, v28
	s_nop 1
	v_mov_b32_dpp v28, v5 row_bcast:31 row_mask:0xf bank_mask:0xf
	v_cndmask_b32_e64 v28, 0, v28, s[6:7]
	v_add_u32_e32 v5, v5, v28
	s_and_saveexec_b64 s[28:29], s[8:9]
	s_cbranch_execz .LBB21_73
; %bb.72:                               ;   in Loop: Header=BB21_43 Depth=1
	ds_write_b32 v21, v5 offset:2080
.LBB21_73:                              ;   in Loop: Header=BB21_43 Depth=1
	s_or_b64 exec, exec, s[28:29]
	s_waitcnt lgkmcnt(0)
	s_barrier
	s_and_saveexec_b64 s[28:29], s[4:5]
	s_cbranch_execz .LBB21_75
; %bb.74:                               ;   in Loop: Header=BB21_43 Depth=1
	ds_read_b32 v28, v20 offset:2080
	s_waitcnt lgkmcnt(0)
	s_nop 0
	v_mov_b32_dpp v29, v28 row_shr:1 row_mask:0xf bank_mask:0xf
	v_cndmask_b32_e64 v29, v29, 0, s[22:23]
	v_add_u32_e32 v28, v29, v28
	ds_write_b32 v20, v28 offset:2080
.LBB21_75:                              ;   in Loop: Header=BB21_43 Depth=1
	s_or_b64 exec, exec, s[28:29]
	v_mov_b32_e32 v28, 0
	s_waitcnt lgkmcnt(0)
	s_barrier
	s_and_saveexec_b64 s[28:29], s[2:3]
	s_cbranch_execz .LBB21_77
; %bb.76:                               ;   in Loop: Header=BB21_43 Depth=1
	ds_read_b32 v28, v21 offset:2076
.LBB21_77:                              ;   in Loop: Header=BB21_43 Depth=1
	s_or_b64 exec, exec, s[28:29]
	s_waitcnt lgkmcnt(0)
	v_add_u32_e32 v5, v28, v5
	ds_bpermute_b32 v5, v22, v5
	ds_read_b32 v29, v26 offset:2084
	s_cmp_gt_u32 s33, 59
	s_waitcnt lgkmcnt(1)
	v_cndmask_b32_e64 v5, v5, v28, s[10:11]
	s_waitcnt lgkmcnt(0)
	v_lshl_add_u32 v28, v29, 16, v5
	v_add_u32_e32 v29, v28, v6
	v_add_u32_e32 v6, v29, v7
	;; [unrolled: 1-line block ×7, first 2 shown]
	ds_write2_b64 v15, v[28:29], v[6:7] offset1:1
	ds_write2_b64 v15, v[8:9], v[2:3] offset0:2 offset1:3
	s_waitcnt lgkmcnt(0)
	s_barrier
	ds_read_u16 v2, v17
	s_waitcnt lgkmcnt(0)
	v_add_u32_sdwa v2, v2, v16 dst_sel:DWORD dst_unused:UNUSED_PAD src0_sel:DWORD src1_sel:WORD_0
	s_cbranch_scc0 .LBB21_42
; %bb.78:
                                        ; implicit-def: $sgpr33
                                        ; implicit-def: $vgpr16_vgpr17
.LBB21_79:
	v_lshlrev_b32_e32 v0, 3, v2
	s_barrier
	ds_write_b64 v0, v[18:19]
	s_waitcnt lgkmcnt(0)
	s_barrier
.LBB21_80:
	v_add_u32_e32 v0, v20, v13
	ds_read_b64 v[0:1], v0
	v_bfrev_b32_e32 v2, 1
	s_waitcnt lgkmcnt(0)
	v_cmp_lt_i64_e32 vcc, -1, v[0:1]
	v_ashrrev_i32_e32 v3, 31, v1
	v_cndmask_b32_e64 v2, v2, -1, vcc
	v_not_b32_e32 v3, v3
	v_xor_b32_e32 v1, v2, v1
	v_xor_b32_e32 v0, v3, v0
	global_store_dwordx2 v[10:11], v[0:1], off
	s_endpgm
	.section	.rodata,"a",@progbits
	.p2align	6, 0x0
	.amdhsa_kernel _Z15sort_key_kernelILj65ELj1ELb0ELb0EdEvPT3_jj
		.amdhsa_group_segment_fixed_size 2096
		.amdhsa_private_segment_fixed_size 0
		.amdhsa_kernarg_size 16
		.amdhsa_user_sgpr_count 6
		.amdhsa_user_sgpr_private_segment_buffer 1
		.amdhsa_user_sgpr_dispatch_ptr 0
		.amdhsa_user_sgpr_queue_ptr 0
		.amdhsa_user_sgpr_kernarg_segment_ptr 1
		.amdhsa_user_sgpr_dispatch_id 0
		.amdhsa_user_sgpr_flat_scratch_init 0
		.amdhsa_user_sgpr_kernarg_preload_length 0
		.amdhsa_user_sgpr_kernarg_preload_offset 0
		.amdhsa_user_sgpr_private_segment_size 0
		.amdhsa_uses_dynamic_stack 0
		.amdhsa_system_sgpr_private_segment_wavefront_offset 0
		.amdhsa_system_sgpr_workgroup_id_x 1
		.amdhsa_system_sgpr_workgroup_id_y 0
		.amdhsa_system_sgpr_workgroup_id_z 0
		.amdhsa_system_sgpr_workgroup_info 0
		.amdhsa_system_vgpr_workitem_id 0
		.amdhsa_next_free_vgpr 34
		.amdhsa_next_free_sgpr 47
		.amdhsa_accum_offset 36
		.amdhsa_reserve_vcc 1
		.amdhsa_reserve_flat_scratch 0
		.amdhsa_float_round_mode_32 0
		.amdhsa_float_round_mode_16_64 0
		.amdhsa_float_denorm_mode_32 3
		.amdhsa_float_denorm_mode_16_64 3
		.amdhsa_dx10_clamp 1
		.amdhsa_ieee_mode 1
		.amdhsa_fp16_overflow 0
		.amdhsa_tg_split 0
		.amdhsa_exception_fp_ieee_invalid_op 0
		.amdhsa_exception_fp_denorm_src 0
		.amdhsa_exception_fp_ieee_div_zero 0
		.amdhsa_exception_fp_ieee_overflow 0
		.amdhsa_exception_fp_ieee_underflow 0
		.amdhsa_exception_fp_ieee_inexact 0
		.amdhsa_exception_int_div_zero 0
	.end_amdhsa_kernel
	.section	.text._Z15sort_key_kernelILj65ELj1ELb0ELb0EdEvPT3_jj,"axG",@progbits,_Z15sort_key_kernelILj65ELj1ELb0ELb0EdEvPT3_jj,comdat
.Lfunc_end21:
	.size	_Z15sort_key_kernelILj65ELj1ELb0ELb0EdEvPT3_jj, .Lfunc_end21-_Z15sort_key_kernelILj65ELj1ELb0ELb0EdEvPT3_jj
                                        ; -- End function
	.section	.AMDGPU.csdata,"",@progbits
; Kernel info:
; codeLenInByte = 2784
; NumSgprs: 51
; NumVgprs: 34
; NumAgprs: 0
; TotalNumVgprs: 34
; ScratchSize: 0
; MemoryBound: 0
; FloatMode: 240
; IeeeMode: 1
; LDSByteSize: 2096 bytes/workgroup (compile time only)
; SGPRBlocks: 6
; VGPRBlocks: 4
; NumSGPRsForWavesPerEU: 51
; NumVGPRsForWavesPerEU: 34
; AccumOffset: 36
; Occupancy: 8
; WaveLimiterHint : 0
; COMPUTE_PGM_RSRC2:SCRATCH_EN: 0
; COMPUTE_PGM_RSRC2:USER_SGPR: 6
; COMPUTE_PGM_RSRC2:TRAP_HANDLER: 0
; COMPUTE_PGM_RSRC2:TGID_X_EN: 1
; COMPUTE_PGM_RSRC2:TGID_Y_EN: 0
; COMPUTE_PGM_RSRC2:TGID_Z_EN: 0
; COMPUTE_PGM_RSRC2:TIDIG_COMP_CNT: 0
; COMPUTE_PGM_RSRC3_GFX90A:ACCUM_OFFSET: 8
; COMPUTE_PGM_RSRC3_GFX90A:TG_SPLIT: 0
	.section	.text._Z15sort_key_kernelILj1024ELj1ELb0ELb1EtEvPT3_jj,"axG",@progbits,_Z15sort_key_kernelILj1024ELj1ELb0ELb1EtEvPT3_jj,comdat
	.protected	_Z15sort_key_kernelILj1024ELj1ELb0ELb1EtEvPT3_jj ; -- Begin function _Z15sort_key_kernelILj1024ELj1ELb0ELb1EtEvPT3_jj
	.globl	_Z15sort_key_kernelILj1024ELj1ELb0ELb1EtEvPT3_jj
	.p2align	8
	.type	_Z15sort_key_kernelILj1024ELj1ELb0ELb1EtEvPT3_jj,@function
_Z15sort_key_kernelILj1024ELj1ELb0ELb1EtEvPT3_jj: ; @_Z15sort_key_kernelILj1024ELj1ELb0ELb1EtEvPT3_jj
; %bb.0:
	s_load_dwordx4 s[24:27], s[4:5], 0x0
	s_load_dword s33, s[4:5], 0x1c
	s_lshl_b32 s22, s6, 10
	s_mov_b32 s23, 0
	s_lshl_b64 s[0:1], s[22:23], 1
	v_and_b32_e32 v2, 0x3ff, v0
	s_waitcnt lgkmcnt(0)
	s_add_u32 s28, s24, s0
	s_addc_u32 s29, s25, s1
	v_lshlrev_b32_e32 v12, 1, v2
	global_load_ushort v3, v12, s[28:29]
	v_mbcnt_lo_u32_b32 v1, -1, 0
	v_mbcnt_hi_u32_b32 v1, -1, v1
	v_add_u32_e32 v8, -1, v1
	v_and_b32_e32 v9, 64, v1
	v_and_b32_e32 v4, 15, v1
	v_cmp_lt_i32_e32 vcc, v8, v9
	v_and_b32_e32 v14, 0x3c0, v2
	v_cmp_eq_u32_e64 s[14:15], 0, v4
	v_cmp_lt_u32_e64 s[10:11], 1, v4
	v_cmp_lt_u32_e64 s[8:9], 3, v4
	v_cmp_lt_u32_e64 s[6:7], 7, v4
	v_cndmask_b32_e32 v4, v8, v1, vcc
	s_cmp_eq_u32 s26, 0
	v_and_b32_e32 v5, 16, v1
	v_cmp_lt_u32_e64 s[16:17], 31, v1
	v_cmp_eq_u32_e64 s[0:1], 0, v1
	v_add_lshl_u32 v18, v1, v14, 1
	v_lshlrev_b32_e32 v14, 2, v4
	v_mov_b32_e32 v1, s29
	v_add_co_u32_e32 v4, vcc, s28, v12
	s_cselect_b64 s[28:29], -1, 0
	s_cmp_eq_u32 s27, 16
	v_bfe_u32 v6, v0, 10, 10
	v_bfe_u32 v0, v0, 20, 10
	s_cselect_b64 s[30:31], -1, 0
	s_lshr_b32 s22, s33, 16
	v_lshrrev_b32_e32 v10, 4, v2
	s_and_b32 s33, s33, 0xffff
	v_mad_u32_u24 v0, v0, s22, v6
	v_lshlrev_b32_e32 v13, 4, v2
	v_and_b32_e32 v7, 63, v2
	v_mul_i32_i24_e32 v11, -12, v2
	v_cmp_eq_u32_e64 s[20:21], 0, v5
	v_and_b32_e32 v17, 60, v10
	v_addc_co_u32_e32 v5, vcc, 0, v1, vcc
	s_and_b64 s[28:29], s[28:29], s[30:31]
	s_mov_b64 s[24:25], -1
	v_cmp_gt_u32_e64 s[12:13], 16, v2
	v_cmp_lt_u32_e64 s[4:5], 63, v2
	v_cmp_eq_u32_e64 s[2:3], 0, v2
	v_cmp_eq_u32_e64 s[18:19], 63, v7
	v_add_u32_e32 v16, v13, v11
	v_add_u32_e32 v15, -4, v17
	s_and_b64 vcc, exec, s[28:29]
	s_waitcnt vmcnt(0)
	v_mad_u64_u32 v[0:1], s[30:31], v0, s33, v[2:3]
	v_lshrrev_b32_e32 v19, 6, v0
	v_xor_b32_e32 v20, -1, v3
	s_cbranch_vccnz .LBB22_14
; %bb.1:
	s_mov_b32 s22, s23
	s_mov_b32 s28, s23
	s_mov_b32 s29, s23
	s_sub_i32 s24, s27, s26
	v_pk_mov_b32 v[6:7], s[22:23], s[22:23] op_sel:[0,1]
	v_pk_mov_b32 v[8:9], s[28:29], s[28:29] op_sel:[0,1]
	v_mov_b32_e32 v10, 0
	v_mov_b32_e32 v1, v20
	s_branch .LBB22_3
.LBB22_2:                               ;   in Loop: Header=BB22_3 Depth=1
	s_barrier
	ds_write_b16 v0, v21
	s_waitcnt lgkmcnt(0)
	s_barrier
	ds_read_u16 v1, v18
	s_add_i32 s24, s24, -8
	s_waitcnt lgkmcnt(0)
	s_barrier
	s_cbranch_execz .LBB22_13
.LBB22_3:                               ; =>This Inner Loop Header: Depth=1
	v_mov_b32_e32 v21, v1
	s_min_u32 s22, s24, 8
	v_lshrrev_b32_sdwa v0, s26, v21 dst_sel:DWORD dst_unused:UNUSED_PAD src0_sel:DWORD src1_sel:WORD_0
	v_bfe_u32 v0, v0, 0, s22
	v_lshl_add_u32 v1, v0, 4, v19
	v_lshl_add_u32 v22, v1, 2, 64
	v_and_b32_e32 v1, 1, v0
	v_add_co_u32_e32 v2, vcc, -1, v1
	v_addc_co_u32_e64 v3, s[22:23], 0, -1, vcc
	v_cmp_ne_u32_e32 vcc, 0, v1
	v_lshlrev_b32_e32 v11, 30, v0
	v_xor_b32_e32 v1, vcc_hi, v3
	v_not_b32_e32 v3, v11
	v_xor_b32_e32 v2, vcc_lo, v2
	v_cmp_gt_i64_e32 vcc, 0, v[10:11]
	v_ashrrev_i32_e32 v3, 31, v3
	v_and_b32_e32 v1, exec_hi, v1
	v_xor_b32_e32 v11, vcc_hi, v3
	v_and_b32_e32 v2, exec_lo, v2
	v_xor_b32_e32 v3, vcc_lo, v3
	v_and_b32_e32 v1, v1, v11
	v_lshlrev_b32_e32 v11, 29, v0
	v_and_b32_e32 v2, v2, v3
	v_not_b32_e32 v3, v11
	v_cmp_gt_i64_e32 vcc, 0, v[10:11]
	v_ashrrev_i32_e32 v3, 31, v3
	v_xor_b32_e32 v11, vcc_hi, v3
	v_xor_b32_e32 v3, vcc_lo, v3
	v_and_b32_e32 v1, v1, v11
	v_lshlrev_b32_e32 v11, 28, v0
	v_and_b32_e32 v2, v2, v3
	v_not_b32_e32 v3, v11
	v_cmp_gt_i64_e32 vcc, 0, v[10:11]
	v_ashrrev_i32_e32 v3, 31, v3
	v_xor_b32_e32 v11, vcc_hi, v3
	;; [unrolled: 8-line block ×5, first 2 shown]
	v_and_b32_e32 v1, v1, v11
	v_lshlrev_b32_e32 v11, 24, v0
	v_not_b32_e32 v0, v11
	v_xor_b32_e32 v3, vcc_lo, v3
	v_cmp_gt_i64_e32 vcc, 0, v[10:11]
	v_ashrrev_i32_e32 v0, 31, v0
	v_and_b32_e32 v2, v2, v3
	v_xor_b32_e32 v3, vcc_hi, v0
	v_xor_b32_e32 v0, vcc_lo, v0
	v_and_b32_e32 v0, v2, v0
	v_and_b32_e32 v1, v1, v3
	v_mbcnt_lo_u32_b32 v2, v0, 0
	v_mbcnt_hi_u32_b32 v11, v1, v2
	v_cmp_eq_u32_e32 vcc, 0, v11
	v_cmp_ne_u64_e64 s[22:23], 0, v[0:1]
	s_and_b64 s[28:29], s[22:23], vcc
	ds_write2_b64 v13, v[6:7], v[8:9] offset0:8 offset1:9
	s_waitcnt lgkmcnt(0)
	s_barrier
	s_waitcnt lgkmcnt(0)
	; wave barrier
	s_and_saveexec_b64 s[22:23], s[28:29]
	s_cbranch_execz .LBB22_5
; %bb.4:                                ;   in Loop: Header=BB22_3 Depth=1
	v_bcnt_u32_b32 v0, v0, 0
	v_bcnt_u32_b32 v0, v1, v0
	ds_write_b32 v22, v0
.LBB22_5:                               ;   in Loop: Header=BB22_3 Depth=1
	s_or_b64 exec, exec, s[22:23]
	; wave barrier
	s_waitcnt lgkmcnt(0)
	s_barrier
	ds_read2_b64 v[0:3], v13 offset0:8 offset1:9
	s_waitcnt lgkmcnt(0)
	v_add_u32_e32 v23, v1, v0
	v_add3_u32 v3, v23, v2, v3
	s_nop 1
	v_mov_b32_dpp v23, v3 row_shr:1 row_mask:0xf bank_mask:0xf
	v_cndmask_b32_e64 v23, v23, 0, s[14:15]
	v_add_u32_e32 v3, v23, v3
	s_nop 1
	v_mov_b32_dpp v23, v3 row_shr:2 row_mask:0xf bank_mask:0xf
	v_cndmask_b32_e64 v23, 0, v23, s[10:11]
	v_add_u32_e32 v3, v3, v23
	;; [unrolled: 4-line block ×4, first 2 shown]
	s_nop 1
	v_mov_b32_dpp v23, v3 row_bcast:15 row_mask:0xf bank_mask:0xf
	v_cndmask_b32_e64 v23, v23, 0, s[20:21]
	v_add_u32_e32 v3, v3, v23
	s_nop 1
	v_mov_b32_dpp v23, v3 row_bcast:31 row_mask:0xf bank_mask:0xf
	v_cndmask_b32_e64 v23, 0, v23, s[16:17]
	v_add_u32_e32 v3, v3, v23
	s_and_saveexec_b64 s[22:23], s[18:19]
	s_cbranch_execz .LBB22_7
; %bb.6:                                ;   in Loop: Header=BB22_3 Depth=1
	ds_write_b32 v17, v3
.LBB22_7:                               ;   in Loop: Header=BB22_3 Depth=1
	s_or_b64 exec, exec, s[22:23]
	s_waitcnt lgkmcnt(0)
	s_barrier
	s_and_saveexec_b64 s[22:23], s[12:13]
	s_cbranch_execz .LBB22_9
; %bb.8:                                ;   in Loop: Header=BB22_3 Depth=1
	ds_read_b32 v23, v16
	s_waitcnt lgkmcnt(0)
	s_nop 0
	v_mov_b32_dpp v24, v23 row_shr:1 row_mask:0xf bank_mask:0xf
	v_cndmask_b32_e64 v24, v24, 0, s[14:15]
	v_add_u32_e32 v23, v24, v23
	s_nop 1
	v_mov_b32_dpp v24, v23 row_shr:2 row_mask:0xf bank_mask:0xf
	v_cndmask_b32_e64 v24, 0, v24, s[10:11]
	v_add_u32_e32 v23, v23, v24
	;; [unrolled: 4-line block ×4, first 2 shown]
	ds_write_b32 v16, v23
.LBB22_9:                               ;   in Loop: Header=BB22_3 Depth=1
	s_or_b64 exec, exec, s[22:23]
	v_mov_b32_e32 v23, 0
	s_waitcnt lgkmcnt(0)
	s_barrier
	s_and_saveexec_b64 s[22:23], s[4:5]
	s_cbranch_execz .LBB22_11
; %bb.10:                               ;   in Loop: Header=BB22_3 Depth=1
	ds_read_b32 v23, v15
.LBB22_11:                              ;   in Loop: Header=BB22_3 Depth=1
	s_or_b64 exec, exec, s[22:23]
	s_waitcnt lgkmcnt(0)
	v_add_u32_e32 v3, v23, v3
	ds_bpermute_b32 v3, v14, v3
	s_add_i32 s26, s26, 8
	s_cmp_ge_u32 s26, s27
	s_waitcnt lgkmcnt(0)
	v_cndmask_b32_e64 v3, v3, v23, s[0:1]
	v_cndmask_b32_e64 v24, v3, 0, s[2:3]
	v_add_u32_e32 v25, v24, v0
	v_add_u32_e32 v0, v25, v1
	;; [unrolled: 1-line block ×3, first 2 shown]
	ds_write2_b64 v13, v[24:25], v[0:1] offset0:8 offset1:9
	s_waitcnt lgkmcnt(0)
	s_barrier
	ds_read_b32 v0, v22
	v_lshlrev_b32_e32 v1, 1, v11
	s_waitcnt lgkmcnt(0)
	v_lshl_add_u32 v0, v0, 1, v1
	s_cbranch_scc0 .LBB22_2
; %bb.12:
                                        ; implicit-def: $vgpr1
                                        ; implicit-def: $sgpr24
.LBB22_13:
	s_mov_b64 s[24:25], 0
	s_barrier
	ds_write_b16 v0, v21
	s_waitcnt lgkmcnt(0)
	s_barrier
.LBB22_14:
	s_and_b64 vcc, exec, s[24:25]
	s_cbranch_vccz .LBB22_32
; %bb.15:
	s_mov_b32 s22, 0
	s_mov_b32 s23, s22
	;; [unrolled: 1-line block ×4, first 2 shown]
	v_pk_mov_b32 v[0:1], s[22:23], s[22:23] op_sel:[0,1]
	v_pk_mov_b32 v[2:3], s[24:25], s[24:25] op_sel:[0,1]
	ds_write2_b64 v13, v[0:1], v[2:3] offset0:8 offset1:9
	v_and_b32_e32 v1, 1, v20
	v_add_co_u32_e32 v2, vcc, -1, v1
	v_mov_b32_e32 v0, 4
	v_addc_co_u32_e64 v3, s[22:23], 0, -1, vcc
	v_cmp_ne_u32_e32 vcc, 0, v1
	v_lshlrev_b16_sdwa v0, v0, v20 dst_sel:DWORD dst_unused:UNUSED_PAD src0_sel:DWORD src1_sel:BYTE_0
	v_xor_b32_e32 v1, vcc_hi, v3
	v_add_lshl_u32 v7, v19, v0, 2
	v_mov_b32_e32 v0, 0
	v_and_b32_e32 v3, exec_hi, v1
	v_lshlrev_b32_e32 v1, 30, v20
	v_xor_b32_e32 v2, vcc_lo, v2
	v_cmp_gt_i64_e32 vcc, 0, v[0:1]
	v_not_b32_e32 v1, v1
	v_ashrrev_i32_e32 v1, 31, v1
	v_and_b32_e32 v2, exec_lo, v2
	v_xor_b32_e32 v6, vcc_hi, v1
	v_xor_b32_e32 v1, vcc_lo, v1
	v_and_b32_e32 v2, v2, v1
	v_lshlrev_b32_e32 v1, 29, v20
	v_cmp_gt_i64_e32 vcc, 0, v[0:1]
	v_not_b32_e32 v1, v1
	v_ashrrev_i32_e32 v1, 31, v1
	v_and_b32_e32 v3, v3, v6
	v_xor_b32_e32 v6, vcc_hi, v1
	v_xor_b32_e32 v1, vcc_lo, v1
	v_and_b32_e32 v2, v2, v1
	v_lshlrev_b32_e32 v1, 28, v20
	v_cmp_gt_i64_e32 vcc, 0, v[0:1]
	v_not_b32_e32 v1, v1
	v_ashrrev_i32_e32 v1, 31, v1
	v_and_b32_e32 v3, v3, v6
	;; [unrolled: 8-line block ×5, first 2 shown]
	v_xor_b32_e32 v6, vcc_hi, v1
	v_xor_b32_e32 v1, vcc_lo, v1
	v_and_b32_e32 v2, v2, v1
	v_lshlrev_b32_e32 v1, 24, v20
	v_cmp_gt_i64_e32 vcc, 0, v[0:1]
	v_not_b32_e32 v0, v1
	v_ashrrev_i32_e32 v0, 31, v0
	v_xor_b32_e32 v1, vcc_hi, v0
	v_xor_b32_e32 v0, vcc_lo, v0
	v_and_b32_e32 v3, v3, v6
	v_and_b32_e32 v0, v2, v0
	;; [unrolled: 1-line block ×3, first 2 shown]
	v_mbcnt_lo_u32_b32 v2, v0, 0
	v_mbcnt_hi_u32_b32 v8, v1, v2
	v_cmp_eq_u32_e32 vcc, 0, v8
	v_cmp_ne_u64_e64 s[22:23], 0, v[0:1]
	s_and_b64 s[24:25], s[22:23], vcc
	s_waitcnt lgkmcnt(0)
	s_barrier
	s_waitcnt lgkmcnt(0)
	; wave barrier
	s_and_saveexec_b64 s[22:23], s[24:25]
	s_cbranch_execz .LBB22_17
; %bb.16:
	v_bcnt_u32_b32 v0, v0, 0
	v_bcnt_u32_b32 v0, v1, v0
	ds_write_b32 v7, v0 offset:64
.LBB22_17:
	s_or_b64 exec, exec, s[22:23]
	; wave barrier
	s_waitcnt lgkmcnt(0)
	s_barrier
	ds_read2_b64 v[0:3], v13 offset0:8 offset1:9
	s_waitcnt lgkmcnt(0)
	v_add_u32_e32 v6, v1, v0
	v_add3_u32 v3, v6, v2, v3
	s_nop 1
	v_mov_b32_dpp v6, v3 row_shr:1 row_mask:0xf bank_mask:0xf
	v_cndmask_b32_e64 v6, v6, 0, s[14:15]
	v_add_u32_e32 v3, v6, v3
	s_nop 1
	v_mov_b32_dpp v6, v3 row_shr:2 row_mask:0xf bank_mask:0xf
	v_cndmask_b32_e64 v6, 0, v6, s[10:11]
	v_add_u32_e32 v3, v3, v6
	s_nop 1
	v_mov_b32_dpp v6, v3 row_shr:4 row_mask:0xf bank_mask:0xf
	v_cndmask_b32_e64 v6, 0, v6, s[8:9]
	v_add_u32_e32 v3, v3, v6
	s_nop 1
	v_mov_b32_dpp v6, v3 row_shr:8 row_mask:0xf bank_mask:0xf
	v_cndmask_b32_e64 v6, 0, v6, s[6:7]
	v_add_u32_e32 v3, v3, v6
	s_nop 1
	v_mov_b32_dpp v6, v3 row_bcast:15 row_mask:0xf bank_mask:0xf
	v_cndmask_b32_e64 v6, v6, 0, s[20:21]
	v_add_u32_e32 v3, v3, v6
	s_nop 1
	v_mov_b32_dpp v6, v3 row_bcast:31 row_mask:0xf bank_mask:0xf
	v_cndmask_b32_e64 v6, 0, v6, s[16:17]
	v_add_u32_e32 v3, v3, v6
	s_and_saveexec_b64 s[22:23], s[18:19]
	s_cbranch_execz .LBB22_19
; %bb.18:
	ds_write_b32 v17, v3
.LBB22_19:
	s_or_b64 exec, exec, s[22:23]
	s_waitcnt lgkmcnt(0)
	s_barrier
	s_and_saveexec_b64 s[22:23], s[12:13]
	s_cbranch_execz .LBB22_21
; %bb.20:
	ds_read_b32 v6, v16
	s_waitcnt lgkmcnt(0)
	s_nop 0
	v_mov_b32_dpp v9, v6 row_shr:1 row_mask:0xf bank_mask:0xf
	v_cndmask_b32_e64 v9, v9, 0, s[14:15]
	v_add_u32_e32 v6, v9, v6
	s_nop 1
	v_mov_b32_dpp v9, v6 row_shr:2 row_mask:0xf bank_mask:0xf
	v_cndmask_b32_e64 v9, 0, v9, s[10:11]
	v_add_u32_e32 v6, v6, v9
	s_nop 1
	v_mov_b32_dpp v9, v6 row_shr:4 row_mask:0xf bank_mask:0xf
	v_cndmask_b32_e64 v9, 0, v9, s[8:9]
	v_add_u32_e32 v6, v6, v9
	s_nop 1
	v_mov_b32_dpp v9, v6 row_shr:8 row_mask:0xf bank_mask:0xf
	v_cndmask_b32_e64 v9, 0, v9, s[6:7]
	v_add_u32_e32 v6, v6, v9
	ds_write_b32 v16, v6
.LBB22_21:
	s_or_b64 exec, exec, s[22:23]
	v_mov_b32_e32 v6, 0
	v_mov_b32_e32 v9, 0
	s_waitcnt lgkmcnt(0)
	s_barrier
	s_and_saveexec_b64 s[22:23], s[4:5]
	s_cbranch_execz .LBB22_23
; %bb.22:
	ds_read_b32 v9, v15
.LBB22_23:
	s_or_b64 exec, exec, s[22:23]
	s_waitcnt lgkmcnt(0)
	v_add_u32_e32 v3, v9, v3
	ds_bpermute_b32 v3, v14, v3
	s_mov_b32 s22, 0
	s_mov_b32 s23, s22
	;; [unrolled: 1-line block ×4, first 2 shown]
	s_waitcnt lgkmcnt(0)
	v_cndmask_b32_e64 v3, v3, v9, s[0:1]
	v_cndmask_b32_e64 v10, v3, 0, s[2:3]
	v_add_u32_e32 v11, v10, v0
	v_add_u32_e32 v0, v11, v1
	;; [unrolled: 1-line block ×3, first 2 shown]
	ds_write2_b64 v13, v[10:11], v[0:1] offset0:8 offset1:9
	s_waitcnt lgkmcnt(0)
	s_barrier
	ds_read_b32 v0, v7 offset:64
	v_lshlrev_b32_e32 v1, 1, v8
	s_waitcnt lgkmcnt(0)
	s_barrier
	v_lshl_add_u32 v0, v0, 1, v1
	ds_write_b16 v0, v20
	s_waitcnt lgkmcnt(0)
	s_barrier
	ds_read_u16 v8, v18
	v_pk_mov_b32 v[0:1], s[22:23], s[22:23] op_sel:[0,1]
	v_pk_mov_b32 v[2:3], s[24:25], s[24:25] op_sel:[0,1]
	s_waitcnt lgkmcnt(0)
	s_barrier
	ds_write2_b64 v13, v[0:1], v[2:3] offset0:8 offset1:9
	v_mov_b32_e32 v0, 4
	v_lshlrev_b16_sdwa v0, v0, v8 dst_sel:DWORD dst_unused:UNUSED_PAD src0_sel:DWORD src1_sel:BYTE_1
	v_add_lshl_u32 v9, v19, v0, 2
	v_mov_b32_e32 v0, 1
	v_and_b32_sdwa v0, v8, v0 dst_sel:DWORD dst_unused:UNUSED_PAD src0_sel:BYTE_1 src1_sel:DWORD
	v_add_co_u32_e32 v1, vcc, -1, v0
	v_addc_co_u32_e64 v2, s[22:23], 0, -1, vcc
	v_cmp_ne_u32_e32 vcc, 0, v0
	v_xor_b32_e32 v0, vcc_hi, v2
	v_mov_b32_e32 v2, 30
	v_lshlrev_b32_sdwa v7, v2, v8 dst_sel:DWORD dst_unused:UNUSED_PAD src0_sel:DWORD src1_sel:BYTE_1
	v_not_b32_e32 v2, v7
	v_xor_b32_e32 v1, vcc_lo, v1
	v_cmp_gt_i64_e32 vcc, 0, v[6:7]
	v_ashrrev_i32_e32 v2, 31, v2
	v_and_b32_e32 v1, exec_lo, v1
	v_xor_b32_e32 v3, vcc_hi, v2
	v_xor_b32_e32 v2, vcc_lo, v2
	v_and_b32_e32 v1, v1, v2
	v_mov_b32_e32 v2, 29
	v_lshlrev_b32_sdwa v7, v2, v8 dst_sel:DWORD dst_unused:UNUSED_PAD src0_sel:DWORD src1_sel:BYTE_1
	v_not_b32_e32 v2, v7
	v_and_b32_e32 v0, exec_hi, v0
	v_cmp_gt_i64_e32 vcc, 0, v[6:7]
	v_ashrrev_i32_e32 v2, 31, v2
	v_and_b32_e32 v0, v0, v3
	v_xor_b32_e32 v3, vcc_hi, v2
	v_xor_b32_e32 v2, vcc_lo, v2
	v_and_b32_e32 v1, v1, v2
	v_mov_b32_e32 v2, 28
	v_lshlrev_b32_sdwa v7, v2, v8 dst_sel:DWORD dst_unused:UNUSED_PAD src0_sel:DWORD src1_sel:BYTE_1
	v_not_b32_e32 v2, v7
	v_cmp_gt_i64_e32 vcc, 0, v[6:7]
	v_ashrrev_i32_e32 v2, 31, v2
	v_and_b32_e32 v0, v0, v3
	v_xor_b32_e32 v3, vcc_hi, v2
	v_xor_b32_e32 v2, vcc_lo, v2
	v_and_b32_e32 v1, v1, v2
	v_mov_b32_e32 v2, 27
	v_lshlrev_b32_sdwa v7, v2, v8 dst_sel:DWORD dst_unused:UNUSED_PAD src0_sel:DWORD src1_sel:BYTE_1
	v_not_b32_e32 v2, v7
	;; [unrolled: 9-line block ×5, first 2 shown]
	v_cmp_gt_i64_e32 vcc, 0, v[6:7]
	v_ashrrev_i32_e32 v1, 31, v1
	v_and_b32_e32 v0, v0, v3
	v_xor_b32_e32 v3, vcc_hi, v1
	v_xor_b32_e32 v6, vcc_lo, v1
	v_and_b32_e32 v1, v0, v3
	v_and_b32_e32 v0, v2, v6
	v_mbcnt_lo_u32_b32 v2, v0, 0
	v_mbcnt_hi_u32_b32 v6, v1, v2
	v_cmp_eq_u32_e32 vcc, 0, v6
	v_cmp_ne_u64_e64 s[22:23], 0, v[0:1]
	s_and_b64 s[24:25], s[22:23], vcc
	s_waitcnt lgkmcnt(0)
	s_barrier
	s_waitcnt lgkmcnt(0)
	; wave barrier
	s_and_saveexec_b64 s[22:23], s[24:25]
	s_cbranch_execz .LBB22_25
; %bb.24:
	v_bcnt_u32_b32 v0, v0, 0
	v_bcnt_u32_b32 v0, v1, v0
	ds_write_b32 v9, v0 offset:64
.LBB22_25:
	s_or_b64 exec, exec, s[22:23]
	; wave barrier
	s_waitcnt lgkmcnt(0)
	s_barrier
	ds_read2_b64 v[0:3], v13 offset0:8 offset1:9
	s_waitcnt lgkmcnt(0)
	v_add_u32_e32 v7, v1, v0
	v_add3_u32 v3, v7, v2, v3
	s_nop 1
	v_mov_b32_dpp v7, v3 row_shr:1 row_mask:0xf bank_mask:0xf
	v_cndmask_b32_e64 v7, v7, 0, s[14:15]
	v_add_u32_e32 v3, v7, v3
	s_nop 1
	v_mov_b32_dpp v7, v3 row_shr:2 row_mask:0xf bank_mask:0xf
	v_cndmask_b32_e64 v7, 0, v7, s[10:11]
	v_add_u32_e32 v3, v3, v7
	;; [unrolled: 4-line block ×4, first 2 shown]
	s_nop 1
	v_mov_b32_dpp v7, v3 row_bcast:15 row_mask:0xf bank_mask:0xf
	v_cndmask_b32_e64 v7, v7, 0, s[20:21]
	v_add_u32_e32 v3, v3, v7
	s_nop 1
	v_mov_b32_dpp v7, v3 row_bcast:31 row_mask:0xf bank_mask:0xf
	v_cndmask_b32_e64 v7, 0, v7, s[16:17]
	v_add_u32_e32 v3, v3, v7
	s_and_saveexec_b64 s[16:17], s[18:19]
	s_cbranch_execz .LBB22_27
; %bb.26:
	ds_write_b32 v17, v3
.LBB22_27:
	s_or_b64 exec, exec, s[16:17]
	s_waitcnt lgkmcnt(0)
	s_barrier
	s_and_saveexec_b64 s[16:17], s[12:13]
	s_cbranch_execz .LBB22_29
; %bb.28:
	ds_read_b32 v7, v16
	s_waitcnt lgkmcnt(0)
	s_nop 0
	v_mov_b32_dpp v10, v7 row_shr:1 row_mask:0xf bank_mask:0xf
	v_cndmask_b32_e64 v10, v10, 0, s[14:15]
	v_add_u32_e32 v7, v10, v7
	s_nop 1
	v_mov_b32_dpp v10, v7 row_shr:2 row_mask:0xf bank_mask:0xf
	v_cndmask_b32_e64 v10, 0, v10, s[10:11]
	v_add_u32_e32 v7, v7, v10
	;; [unrolled: 4-line block ×4, first 2 shown]
	ds_write_b32 v16, v7
.LBB22_29:
	s_or_b64 exec, exec, s[16:17]
	v_mov_b32_e32 v7, 0
	s_waitcnt lgkmcnt(0)
	s_barrier
	s_and_saveexec_b64 s[6:7], s[4:5]
	s_cbranch_execz .LBB22_31
; %bb.30:
	ds_read_b32 v7, v15
.LBB22_31:
	s_or_b64 exec, exec, s[6:7]
	s_waitcnt lgkmcnt(0)
	v_add_u32_e32 v3, v7, v3
	ds_bpermute_b32 v3, v14, v3
	s_waitcnt lgkmcnt(0)
	v_cndmask_b32_e64 v3, v3, v7, s[0:1]
	v_cndmask_b32_e64 v10, v3, 0, s[2:3]
	v_add_u32_e32 v11, v10, v0
	v_add_u32_e32 v0, v11, v1
	;; [unrolled: 1-line block ×3, first 2 shown]
	ds_write2_b64 v13, v[10:11], v[0:1] offset0:8 offset1:9
	s_waitcnt lgkmcnt(0)
	s_barrier
	ds_read_b32 v0, v9 offset:64
	v_lshlrev_b32_e32 v1, 1, v6
	s_waitcnt lgkmcnt(0)
	s_barrier
	v_lshl_add_u32 v0, v0, 1, v1
	ds_write_b16 v0, v8
	s_waitcnt lgkmcnt(0)
	s_barrier
.LBB22_32:
	ds_read_u16 v0, v12
	s_waitcnt lgkmcnt(0)
	v_xor_b32_e32 v0, -1, v0
	global_store_short v[4:5], v0, off
	s_endpgm
	.section	.rodata,"a",@progbits
	.p2align	6, 0x0
	.amdhsa_kernel _Z15sort_key_kernelILj1024ELj1ELb0ELb1EtEvPT3_jj
		.amdhsa_group_segment_fixed_size 16448
		.amdhsa_private_segment_fixed_size 0
		.amdhsa_kernarg_size 272
		.amdhsa_user_sgpr_count 6
		.amdhsa_user_sgpr_private_segment_buffer 1
		.amdhsa_user_sgpr_dispatch_ptr 0
		.amdhsa_user_sgpr_queue_ptr 0
		.amdhsa_user_sgpr_kernarg_segment_ptr 1
		.amdhsa_user_sgpr_dispatch_id 0
		.amdhsa_user_sgpr_flat_scratch_init 0
		.amdhsa_user_sgpr_kernarg_preload_length 0
		.amdhsa_user_sgpr_kernarg_preload_offset 0
		.amdhsa_user_sgpr_private_segment_size 0
		.amdhsa_uses_dynamic_stack 0
		.amdhsa_system_sgpr_private_segment_wavefront_offset 0
		.amdhsa_system_sgpr_workgroup_id_x 1
		.amdhsa_system_sgpr_workgroup_id_y 0
		.amdhsa_system_sgpr_workgroup_id_z 0
		.amdhsa_system_sgpr_workgroup_info 0
		.amdhsa_system_vgpr_workitem_id 2
		.amdhsa_next_free_vgpr 26
		.amdhsa_next_free_sgpr 34
		.amdhsa_accum_offset 28
		.amdhsa_reserve_vcc 1
		.amdhsa_reserve_flat_scratch 0
		.amdhsa_float_round_mode_32 0
		.amdhsa_float_round_mode_16_64 0
		.amdhsa_float_denorm_mode_32 3
		.amdhsa_float_denorm_mode_16_64 3
		.amdhsa_dx10_clamp 1
		.amdhsa_ieee_mode 1
		.amdhsa_fp16_overflow 0
		.amdhsa_tg_split 0
		.amdhsa_exception_fp_ieee_invalid_op 0
		.amdhsa_exception_fp_denorm_src 0
		.amdhsa_exception_fp_ieee_div_zero 0
		.amdhsa_exception_fp_ieee_overflow 0
		.amdhsa_exception_fp_ieee_underflow 0
		.amdhsa_exception_fp_ieee_inexact 0
		.amdhsa_exception_int_div_zero 0
	.end_amdhsa_kernel
	.section	.text._Z15sort_key_kernelILj1024ELj1ELb0ELb1EtEvPT3_jj,"axG",@progbits,_Z15sort_key_kernelILj1024ELj1ELb0ELb1EtEvPT3_jj,comdat
.Lfunc_end22:
	.size	_Z15sort_key_kernelILj1024ELj1ELb0ELb1EtEvPT3_jj, .Lfunc_end22-_Z15sort_key_kernelILj1024ELj1ELb0ELb1EtEvPT3_jj
                                        ; -- End function
	.section	.AMDGPU.csdata,"",@progbits
; Kernel info:
; codeLenInByte = 3168
; NumSgprs: 38
; NumVgprs: 26
; NumAgprs: 0
; TotalNumVgprs: 26
; ScratchSize: 0
; MemoryBound: 0
; FloatMode: 240
; IeeeMode: 1
; LDSByteSize: 16448 bytes/workgroup (compile time only)
; SGPRBlocks: 4
; VGPRBlocks: 3
; NumSGPRsForWavesPerEU: 38
; NumVGPRsForWavesPerEU: 26
; AccumOffset: 28
; Occupancy: 8
; WaveLimiterHint : 0
; COMPUTE_PGM_RSRC2:SCRATCH_EN: 0
; COMPUTE_PGM_RSRC2:USER_SGPR: 6
; COMPUTE_PGM_RSRC2:TRAP_HANDLER: 0
; COMPUTE_PGM_RSRC2:TGID_X_EN: 1
; COMPUTE_PGM_RSRC2:TGID_Y_EN: 0
; COMPUTE_PGM_RSRC2:TGID_Z_EN: 0
; COMPUTE_PGM_RSRC2:TIDIG_COMP_CNT: 2
; COMPUTE_PGM_RSRC3_GFX90A:ACCUM_OFFSET: 6
; COMPUTE_PGM_RSRC3_GFX90A:TG_SPLIT: 0
	.section	.text._Z15sort_key_kernelILj256ELj1ELb0ELb0EjEvPT3_jj,"axG",@progbits,_Z15sort_key_kernelILj256ELj1ELb0ELb0EjEvPT3_jj,comdat
	.protected	_Z15sort_key_kernelILj256ELj1ELb0ELb0EjEvPT3_jj ; -- Begin function _Z15sort_key_kernelILj256ELj1ELb0ELb0EjEvPT3_jj
	.globl	_Z15sort_key_kernelILj256ELj1ELb0ELb0EjEvPT3_jj
	.p2align	8
	.type	_Z15sort_key_kernelILj256ELj1ELb0ELb0EjEvPT3_jj,@function
_Z15sort_key_kernelILj256ELj1ELb0ELb0EjEvPT3_jj: ; @_Z15sort_key_kernelILj256ELj1ELb0ELb0EjEvPT3_jj
; %bb.0:
	s_load_dwordx4 s[28:31], s[4:5], 0x0
	s_load_dword s7, s[4:5], 0x1c
	s_lshl_b32 s26, s6, 8
	s_mov_b32 s27, 0
	s_lshl_b64 s[0:1], s[26:27], 2
	s_waitcnt lgkmcnt(0)
	s_add_u32 s0, s28, s0
	v_and_b32_e32 v2, 0x3ff, v0
	s_addc_u32 s1, s29, s1
	v_lshlrev_b32_e32 v1, 2, v2
	global_load_dword v19, v1, s[0:1]
	s_cmp_eq_u32 s30, 0
	v_mov_b32_e32 v3, s1
	v_add_co_u32_e32 v4, vcc, s0, v1
	s_cselect_b64 s[0:1], -1, 0
	s_cmp_eq_u32 s31, 32
	s_cselect_b64 s[2:3], -1, 0
	s_and_b64 s[34:35], s[0:1], s[2:3]
	s_lshr_b32 s0, s7, 16
	v_bfe_u32 v1, v0, 10, 10
	v_bfe_u32 v0, v0, 20, 10
	s_and_b32 s1, s7, 0xffff
	v_mad_u32_u24 v0, v0, s0, v1
	v_mad_u64_u32 v[0:1], s[0:1], v0, s1, v[2:3]
	v_lshrrev_b32_e32 v17, 6, v0
	v_mbcnt_lo_u32_b32 v0, -1, 0
	v_mbcnt_hi_u32_b32 v0, -1, v0
	v_and_b32_e32 v1, 15, v0
	v_cmp_eq_u32_e64 s[24:25], 0, v1
	v_cmp_lt_u32_e64 s[22:23], 1, v1
	v_cmp_lt_u32_e64 s[20:21], 3, v1
	;; [unrolled: 1-line block ×3, first 2 shown]
	v_and_b32_e32 v1, 16, v0
	v_cmp_eq_u32_e64 s[16:17], 0, v1
	v_and_b32_e32 v1, 0xc0, v2
	v_addc_co_u32_e32 v5, vcc, 0, v3, vcc
	v_or_b32_e32 v3, 63, v1
	v_cmp_eq_u32_e64 s[14:15], v3, v2
	v_add_u32_e32 v3, -1, v0
	v_and_b32_e32 v6, 64, v0
	v_cmp_lt_i32_e32 vcc, v3, v6
	v_cndmask_b32_e32 v3, v3, v0, vcc
	v_lshlrev_b32_e32 v14, 2, v3
	v_lshrrev_b32_e32 v3, 4, v2
	v_lshlrev_b32_e32 v12, 4, v2
	v_cmp_gt_u32_e64 s[6:7], 4, v2
	v_cmp_lt_u32_e64 s[4:5], 63, v2
	v_cmp_eq_u32_e64 s[2:3], 0, v2
	v_and_b32_e32 v16, 12, v3
	v_mul_i32_i24_e32 v2, -12, v2
	v_and_b32_e32 v3, 3, v0
	v_cmp_lt_u32_e64 s[12:13], 31, v0
	v_cmp_eq_u32_e64 s[0:1], 0, v0
	v_cmp_eq_u32_e64 s[10:11], 0, v3
	v_cmp_lt_u32_e64 s[8:9], 1, v3
	v_add_u32_e32 v15, -4, v16
	v_add_lshl_u32 v18, v0, v1, 2
	s_mov_b64 s[28:29], -1
	s_and_b64 vcc, exec, s[34:35]
	v_add_u32_e32 v13, v12, v2
	s_cbranch_vccz .LBB23_3
; %bb.1:
	s_and_b64 vcc, exec, s[28:29]
	s_cbranch_vccnz .LBB23_16
.LBB23_2:
	ds_read_b32 v0, v13
	s_waitcnt lgkmcnt(0)
	global_store_dword v[4:5], v0, off
	s_endpgm
.LBB23_3:
	s_mov_b32 s26, s27
	s_mov_b32 s34, s27
	;; [unrolled: 1-line block ×3, first 2 shown]
	s_sub_i32 s28, s31, s30
	v_pk_mov_b32 v[6:7], s[26:27], s[26:27] op_sel:[0,1]
	v_pk_mov_b32 v[8:9], s[34:35], s[34:35] op_sel:[0,1]
	v_mov_b32_e32 v10, 0
	s_waitcnt vmcnt(0)
	v_mov_b32_e32 v1, v19
	s_branch .LBB23_5
.LBB23_4:                               ;   in Loop: Header=BB23_5 Depth=1
	s_barrier
	ds_write_b32 v0, v20
	s_waitcnt lgkmcnt(0)
	s_barrier
	ds_read_b32 v1, v18
	s_add_i32 s28, s28, -8
	s_waitcnt lgkmcnt(0)
	s_barrier
	s_cbranch_execz .LBB23_15
.LBB23_5:                               ; =>This Inner Loop Header: Depth=1
	v_mov_b32_e32 v20, v1
	s_min_u32 s26, s28, 8
	v_lshrrev_b32_e32 v0, s30, v20
	v_bfe_u32 v0, v0, 0, s26
	v_lshl_add_u32 v1, v0, 2, v17
	v_lshl_add_u32 v21, v1, 2, 16
	v_and_b32_e32 v1, 1, v0
	v_add_co_u32_e32 v2, vcc, -1, v1
	v_addc_co_u32_e64 v3, s[26:27], 0, -1, vcc
	v_cmp_ne_u32_e32 vcc, 0, v1
	v_lshlrev_b32_e32 v11, 30, v0
	v_xor_b32_e32 v1, vcc_hi, v3
	v_not_b32_e32 v3, v11
	v_xor_b32_e32 v2, vcc_lo, v2
	v_cmp_gt_i64_e32 vcc, 0, v[10:11]
	v_ashrrev_i32_e32 v3, 31, v3
	v_and_b32_e32 v1, exec_hi, v1
	v_xor_b32_e32 v11, vcc_hi, v3
	v_and_b32_e32 v2, exec_lo, v2
	v_xor_b32_e32 v3, vcc_lo, v3
	v_and_b32_e32 v1, v1, v11
	v_lshlrev_b32_e32 v11, 29, v0
	v_and_b32_e32 v2, v2, v3
	v_not_b32_e32 v3, v11
	v_cmp_gt_i64_e32 vcc, 0, v[10:11]
	v_ashrrev_i32_e32 v3, 31, v3
	v_xor_b32_e32 v11, vcc_hi, v3
	v_xor_b32_e32 v3, vcc_lo, v3
	v_and_b32_e32 v1, v1, v11
	v_lshlrev_b32_e32 v11, 28, v0
	v_and_b32_e32 v2, v2, v3
	v_not_b32_e32 v3, v11
	v_cmp_gt_i64_e32 vcc, 0, v[10:11]
	v_ashrrev_i32_e32 v3, 31, v3
	v_xor_b32_e32 v11, vcc_hi, v3
	;; [unrolled: 8-line block ×5, first 2 shown]
	v_and_b32_e32 v1, v1, v11
	v_lshlrev_b32_e32 v11, 24, v0
	v_not_b32_e32 v0, v11
	v_xor_b32_e32 v3, vcc_lo, v3
	v_cmp_gt_i64_e32 vcc, 0, v[10:11]
	v_ashrrev_i32_e32 v0, 31, v0
	v_and_b32_e32 v2, v2, v3
	v_xor_b32_e32 v3, vcc_hi, v0
	v_xor_b32_e32 v0, vcc_lo, v0
	v_and_b32_e32 v0, v2, v0
	v_and_b32_e32 v1, v1, v3
	v_mbcnt_lo_u32_b32 v2, v0, 0
	v_mbcnt_hi_u32_b32 v11, v1, v2
	v_cmp_eq_u32_e32 vcc, 0, v11
	v_cmp_ne_u64_e64 s[26:27], 0, v[0:1]
	s_and_b64 s[34:35], s[26:27], vcc
	ds_write2_b64 v12, v[6:7], v[8:9] offset0:2 offset1:3
	s_waitcnt lgkmcnt(0)
	s_barrier
	s_waitcnt lgkmcnt(0)
	; wave barrier
	s_and_saveexec_b64 s[26:27], s[34:35]
	s_cbranch_execz .LBB23_7
; %bb.6:                                ;   in Loop: Header=BB23_5 Depth=1
	v_bcnt_u32_b32 v0, v0, 0
	v_bcnt_u32_b32 v0, v1, v0
	ds_write_b32 v21, v0
.LBB23_7:                               ;   in Loop: Header=BB23_5 Depth=1
	s_or_b64 exec, exec, s[26:27]
	; wave barrier
	s_waitcnt lgkmcnt(0)
	s_barrier
	ds_read2_b64 v[0:3], v12 offset0:2 offset1:3
	s_waitcnt lgkmcnt(0)
	v_add_u32_e32 v22, v1, v0
	v_add3_u32 v3, v22, v2, v3
	s_nop 1
	v_mov_b32_dpp v22, v3 row_shr:1 row_mask:0xf bank_mask:0xf
	v_cndmask_b32_e64 v22, v22, 0, s[24:25]
	v_add_u32_e32 v3, v22, v3
	s_nop 1
	v_mov_b32_dpp v22, v3 row_shr:2 row_mask:0xf bank_mask:0xf
	v_cndmask_b32_e64 v22, 0, v22, s[22:23]
	v_add_u32_e32 v3, v3, v22
	;; [unrolled: 4-line block ×4, first 2 shown]
	s_nop 1
	v_mov_b32_dpp v22, v3 row_bcast:15 row_mask:0xf bank_mask:0xf
	v_cndmask_b32_e64 v22, v22, 0, s[16:17]
	v_add_u32_e32 v3, v3, v22
	s_nop 1
	v_mov_b32_dpp v22, v3 row_bcast:31 row_mask:0xf bank_mask:0xf
	v_cndmask_b32_e64 v22, 0, v22, s[12:13]
	v_add_u32_e32 v3, v3, v22
	s_and_saveexec_b64 s[26:27], s[14:15]
	s_cbranch_execz .LBB23_9
; %bb.8:                                ;   in Loop: Header=BB23_5 Depth=1
	ds_write_b32 v16, v3
.LBB23_9:                               ;   in Loop: Header=BB23_5 Depth=1
	s_or_b64 exec, exec, s[26:27]
	s_waitcnt lgkmcnt(0)
	s_barrier
	s_and_saveexec_b64 s[26:27], s[6:7]
	s_cbranch_execz .LBB23_11
; %bb.10:                               ;   in Loop: Header=BB23_5 Depth=1
	ds_read_b32 v22, v13
	s_waitcnt lgkmcnt(0)
	s_nop 0
	v_mov_b32_dpp v23, v22 row_shr:1 row_mask:0xf bank_mask:0xf
	v_cndmask_b32_e64 v23, v23, 0, s[10:11]
	v_add_u32_e32 v22, v23, v22
	s_nop 1
	v_mov_b32_dpp v23, v22 row_shr:2 row_mask:0xf bank_mask:0xf
	v_cndmask_b32_e64 v23, 0, v23, s[8:9]
	v_add_u32_e32 v22, v22, v23
	ds_write_b32 v13, v22
.LBB23_11:                              ;   in Loop: Header=BB23_5 Depth=1
	s_or_b64 exec, exec, s[26:27]
	v_mov_b32_e32 v22, 0
	s_waitcnt lgkmcnt(0)
	s_barrier
	s_and_saveexec_b64 s[26:27], s[4:5]
	s_cbranch_execz .LBB23_13
; %bb.12:                               ;   in Loop: Header=BB23_5 Depth=1
	ds_read_b32 v22, v15
.LBB23_13:                              ;   in Loop: Header=BB23_5 Depth=1
	s_or_b64 exec, exec, s[26:27]
	s_waitcnt lgkmcnt(0)
	v_add_u32_e32 v3, v22, v3
	ds_bpermute_b32 v3, v14, v3
	s_add_i32 s30, s30, 8
	s_cmp_ge_u32 s30, s31
	s_waitcnt lgkmcnt(0)
	v_cndmask_b32_e64 v3, v3, v22, s[0:1]
	v_cndmask_b32_e64 v22, v3, 0, s[2:3]
	v_add_u32_e32 v23, v22, v0
	v_add_u32_e32 v0, v23, v1
	;; [unrolled: 1-line block ×3, first 2 shown]
	ds_write2_b64 v12, v[22:23], v[0:1] offset0:2 offset1:3
	s_waitcnt lgkmcnt(0)
	s_barrier
	ds_read_b32 v0, v21
	v_lshlrev_b32_e32 v1, 2, v11
	s_waitcnt lgkmcnt(0)
	v_lshl_add_u32 v0, v0, 2, v1
	s_cbranch_scc0 .LBB23_4
; %bb.14:
                                        ; implicit-def: $vgpr1
                                        ; implicit-def: $sgpr28
.LBB23_15:
	s_barrier
	ds_write_b32 v0, v20
	s_waitcnt lgkmcnt(0)
	s_barrier
	s_branch .LBB23_2
.LBB23_16:
	s_mov_b32 s26, 0
	s_mov_b32 s27, s26
	;; [unrolled: 1-line block ×4, first 2 shown]
	v_pk_mov_b32 v[0:1], s[26:27], s[26:27] op_sel:[0,1]
	v_pk_mov_b32 v[2:3], s[28:29], s[28:29] op_sel:[0,1]
	ds_write2_b64 v12, v[0:1], v[2:3] offset0:2 offset1:3
	s_waitcnt vmcnt(0)
	v_and_b32_e32 v1, 1, v19
	v_add_co_u32_e32 v2, vcc, -1, v1
	v_mov_b32_e32 v0, 2
	v_addc_co_u32_e64 v3, s[26:27], 0, -1, vcc
	v_cmp_ne_u32_e32 vcc, 0, v1
	v_lshlrev_b32_sdwa v0, v0, v19 dst_sel:DWORD dst_unused:UNUSED_PAD src0_sel:DWORD src1_sel:BYTE_0
	v_xor_b32_e32 v1, vcc_hi, v3
	v_add_lshl_u32 v7, v0, v17, 2
	v_mov_b32_e32 v0, 0
	v_and_b32_e32 v3, exec_hi, v1
	v_lshlrev_b32_e32 v1, 30, v19
	v_xor_b32_e32 v2, vcc_lo, v2
	v_cmp_gt_i64_e32 vcc, 0, v[0:1]
	v_not_b32_e32 v1, v1
	v_ashrrev_i32_e32 v1, 31, v1
	v_and_b32_e32 v2, exec_lo, v2
	v_xor_b32_e32 v6, vcc_hi, v1
	v_xor_b32_e32 v1, vcc_lo, v1
	v_and_b32_e32 v2, v2, v1
	v_lshlrev_b32_e32 v1, 29, v19
	v_cmp_gt_i64_e32 vcc, 0, v[0:1]
	v_not_b32_e32 v1, v1
	v_ashrrev_i32_e32 v1, 31, v1
	v_and_b32_e32 v3, v3, v6
	v_xor_b32_e32 v6, vcc_hi, v1
	v_xor_b32_e32 v1, vcc_lo, v1
	v_and_b32_e32 v2, v2, v1
	v_lshlrev_b32_e32 v1, 28, v19
	v_cmp_gt_i64_e32 vcc, 0, v[0:1]
	v_not_b32_e32 v1, v1
	v_ashrrev_i32_e32 v1, 31, v1
	v_and_b32_e32 v3, v3, v6
	;; [unrolled: 8-line block ×5, first 2 shown]
	v_xor_b32_e32 v6, vcc_hi, v1
	v_xor_b32_e32 v1, vcc_lo, v1
	v_and_b32_e32 v2, v2, v1
	v_lshlrev_b32_e32 v1, 24, v19
	v_cmp_gt_i64_e32 vcc, 0, v[0:1]
	v_not_b32_e32 v0, v1
	v_ashrrev_i32_e32 v0, 31, v0
	v_xor_b32_e32 v1, vcc_hi, v0
	v_xor_b32_e32 v0, vcc_lo, v0
	v_and_b32_e32 v3, v3, v6
	v_and_b32_e32 v0, v2, v0
	;; [unrolled: 1-line block ×3, first 2 shown]
	v_mbcnt_lo_u32_b32 v2, v0, 0
	v_mbcnt_hi_u32_b32 v8, v1, v2
	v_cmp_eq_u32_e32 vcc, 0, v8
	v_cmp_ne_u64_e64 s[26:27], 0, v[0:1]
	s_and_b64 s[28:29], s[26:27], vcc
	s_waitcnt lgkmcnt(0)
	s_barrier
	s_waitcnt lgkmcnt(0)
	; wave barrier
	s_and_saveexec_b64 s[26:27], s[28:29]
	s_cbranch_execz .LBB23_18
; %bb.17:
	v_bcnt_u32_b32 v0, v0, 0
	v_bcnt_u32_b32 v0, v1, v0
	ds_write_b32 v7, v0 offset:16
.LBB23_18:
	s_or_b64 exec, exec, s[26:27]
	; wave barrier
	s_waitcnt lgkmcnt(0)
	s_barrier
	ds_read2_b64 v[0:3], v12 offset0:2 offset1:3
	s_waitcnt lgkmcnt(0)
	v_add_u32_e32 v6, v1, v0
	v_add3_u32 v3, v6, v2, v3
	s_nop 1
	v_mov_b32_dpp v6, v3 row_shr:1 row_mask:0xf bank_mask:0xf
	v_cndmask_b32_e64 v6, v6, 0, s[24:25]
	v_add_u32_e32 v3, v6, v3
	s_nop 1
	v_mov_b32_dpp v6, v3 row_shr:2 row_mask:0xf bank_mask:0xf
	v_cndmask_b32_e64 v6, 0, v6, s[22:23]
	v_add_u32_e32 v3, v3, v6
	s_nop 1
	v_mov_b32_dpp v6, v3 row_shr:4 row_mask:0xf bank_mask:0xf
	v_cndmask_b32_e64 v6, 0, v6, s[20:21]
	v_add_u32_e32 v3, v3, v6
	s_nop 1
	v_mov_b32_dpp v6, v3 row_shr:8 row_mask:0xf bank_mask:0xf
	v_cndmask_b32_e64 v6, 0, v6, s[18:19]
	v_add_u32_e32 v3, v3, v6
	s_nop 1
	v_mov_b32_dpp v6, v3 row_bcast:15 row_mask:0xf bank_mask:0xf
	v_cndmask_b32_e64 v6, v6, 0, s[16:17]
	v_add_u32_e32 v3, v3, v6
	s_nop 1
	v_mov_b32_dpp v6, v3 row_bcast:31 row_mask:0xf bank_mask:0xf
	v_cndmask_b32_e64 v6, 0, v6, s[12:13]
	v_add_u32_e32 v3, v3, v6
	s_and_saveexec_b64 s[26:27], s[14:15]
	s_cbranch_execz .LBB23_20
; %bb.19:
	ds_write_b32 v16, v3
.LBB23_20:
	s_or_b64 exec, exec, s[26:27]
	s_waitcnt lgkmcnt(0)
	s_barrier
	s_and_saveexec_b64 s[26:27], s[6:7]
	s_cbranch_execz .LBB23_22
; %bb.21:
	ds_read_b32 v6, v13
	s_waitcnt lgkmcnt(0)
	s_nop 0
	v_mov_b32_dpp v9, v6 row_shr:1 row_mask:0xf bank_mask:0xf
	v_cndmask_b32_e64 v9, v9, 0, s[10:11]
	v_add_u32_e32 v6, v9, v6
	s_nop 1
	v_mov_b32_dpp v9, v6 row_shr:2 row_mask:0xf bank_mask:0xf
	v_cndmask_b32_e64 v9, 0, v9, s[8:9]
	v_add_u32_e32 v6, v6, v9
	ds_write_b32 v13, v6
.LBB23_22:
	s_or_b64 exec, exec, s[26:27]
	v_mov_b32_e32 v6, 0
	v_mov_b32_e32 v9, 0
	s_waitcnt lgkmcnt(0)
	s_barrier
	s_and_saveexec_b64 s[26:27], s[4:5]
	s_cbranch_execz .LBB23_24
; %bb.23:
	ds_read_b32 v9, v15
.LBB23_24:
	s_or_b64 exec, exec, s[26:27]
	s_waitcnt lgkmcnt(0)
	v_add_u32_e32 v3, v9, v3
	ds_bpermute_b32 v3, v14, v3
	s_mov_b32 s26, 0
	s_mov_b32 s27, s26
	;; [unrolled: 1-line block ×4, first 2 shown]
	s_waitcnt lgkmcnt(0)
	v_cndmask_b32_e64 v3, v3, v9, s[0:1]
	v_cndmask_b32_e64 v10, v3, 0, s[2:3]
	v_add_u32_e32 v11, v10, v0
	v_add_u32_e32 v0, v11, v1
	;; [unrolled: 1-line block ×3, first 2 shown]
	ds_write2_b64 v12, v[10:11], v[0:1] offset0:2 offset1:3
	s_waitcnt lgkmcnt(0)
	s_barrier
	ds_read_b32 v0, v7 offset:16
	v_lshlrev_b32_e32 v1, 2, v8
	s_waitcnt lgkmcnt(0)
	s_barrier
	v_lshl_add_u32 v0, v0, 2, v1
	ds_write_b32 v0, v19
	s_waitcnt lgkmcnt(0)
	s_barrier
	ds_read_b32 v8, v18
	v_pk_mov_b32 v[0:1], s[26:27], s[26:27] op_sel:[0,1]
	v_pk_mov_b32 v[2:3], s[28:29], s[28:29] op_sel:[0,1]
	s_waitcnt lgkmcnt(0)
	s_barrier
	ds_write2_b64 v12, v[0:1], v[2:3] offset0:2 offset1:3
	v_mov_b32_e32 v1, 2
	v_lshlrev_b32_sdwa v1, v1, v8 dst_sel:DWORD dst_unused:UNUSED_PAD src0_sel:DWORD src1_sel:BYTE_1
	v_add_lshl_u32 v9, v1, v17, 2
	v_bfe_u32 v1, v8, 8, 1
	v_lshrrev_b32_e32 v0, 8, v8
	v_add_co_u32_e32 v2, vcc, -1, v1
	v_addc_co_u32_e64 v3, s[26:27], 0, -1, vcc
	v_cmp_ne_u32_e32 vcc, 0, v1
	v_lshlrev_b32_e32 v7, 30, v0
	v_xor_b32_e32 v1, vcc_hi, v3
	v_not_b32_e32 v3, v7
	v_xor_b32_e32 v2, vcc_lo, v2
	v_cmp_gt_i64_e32 vcc, 0, v[6:7]
	v_ashrrev_i32_e32 v3, 31, v3
	v_and_b32_e32 v1, exec_hi, v1
	v_xor_b32_e32 v7, vcc_hi, v3
	v_and_b32_e32 v2, exec_lo, v2
	v_xor_b32_e32 v3, vcc_lo, v3
	v_and_b32_e32 v1, v1, v7
	v_lshlrev_b32_e32 v7, 29, v0
	v_and_b32_e32 v2, v2, v3
	v_not_b32_e32 v3, v7
	v_cmp_gt_i64_e32 vcc, 0, v[6:7]
	v_ashrrev_i32_e32 v3, 31, v3
	v_xor_b32_e32 v7, vcc_hi, v3
	v_xor_b32_e32 v3, vcc_lo, v3
	v_and_b32_e32 v1, v1, v7
	v_lshlrev_b32_e32 v7, 28, v0
	v_and_b32_e32 v2, v2, v3
	v_not_b32_e32 v3, v7
	v_cmp_gt_i64_e32 vcc, 0, v[6:7]
	v_ashrrev_i32_e32 v3, 31, v3
	v_xor_b32_e32 v7, vcc_hi, v3
	v_xor_b32_e32 v3, vcc_lo, v3
	v_and_b32_e32 v1, v1, v7
	v_lshlrev_b32_e32 v7, 27, v0
	v_and_b32_e32 v2, v2, v3
	v_not_b32_e32 v3, v7
	v_cmp_gt_i64_e32 vcc, 0, v[6:7]
	v_ashrrev_i32_e32 v3, 31, v3
	v_xor_b32_e32 v7, vcc_hi, v3
	v_xor_b32_e32 v3, vcc_lo, v3
	v_and_b32_e32 v1, v1, v7
	v_lshlrev_b32_e32 v7, 26, v0
	v_and_b32_e32 v2, v2, v3
	v_not_b32_e32 v3, v7
	v_cmp_gt_i64_e32 vcc, 0, v[6:7]
	v_ashrrev_i32_e32 v3, 31, v3
	v_xor_b32_e32 v7, vcc_hi, v3
	v_xor_b32_e32 v3, vcc_lo, v3
	v_and_b32_e32 v1, v1, v7
	v_lshlrev_b32_e32 v7, 25, v0
	v_and_b32_e32 v2, v2, v3
	v_not_b32_e32 v3, v7
	v_cmp_gt_i64_e32 vcc, 0, v[6:7]
	v_ashrrev_i32_e32 v3, 31, v3
	v_xor_b32_e32 v7, vcc_hi, v3
	v_and_b32_e32 v1, v1, v7
	v_lshlrev_b32_e32 v7, 24, v0
	v_not_b32_e32 v0, v7
	v_xor_b32_e32 v3, vcc_lo, v3
	v_cmp_gt_i64_e32 vcc, 0, v[6:7]
	v_ashrrev_i32_e32 v0, 31, v0
	v_and_b32_e32 v2, v2, v3
	v_xor_b32_e32 v3, vcc_hi, v0
	v_xor_b32_e32 v0, vcc_lo, v0
	v_and_b32_e32 v0, v2, v0
	v_and_b32_e32 v1, v1, v3
	v_mbcnt_lo_u32_b32 v2, v0, 0
	v_mbcnt_hi_u32_b32 v7, v1, v2
	v_cmp_eq_u32_e32 vcc, 0, v7
	v_cmp_ne_u64_e64 s[26:27], 0, v[0:1]
	s_and_b64 s[28:29], s[26:27], vcc
	s_waitcnt lgkmcnt(0)
	s_barrier
	s_waitcnt lgkmcnt(0)
	; wave barrier
	s_and_saveexec_b64 s[26:27], s[28:29]
	s_cbranch_execz .LBB23_26
; %bb.25:
	v_bcnt_u32_b32 v0, v0, 0
	v_bcnt_u32_b32 v0, v1, v0
	ds_write_b32 v9, v0 offset:16
.LBB23_26:
	s_or_b64 exec, exec, s[26:27]
	; wave barrier
	s_waitcnt lgkmcnt(0)
	s_barrier
	ds_read2_b64 v[0:3], v12 offset0:2 offset1:3
	s_waitcnt lgkmcnt(0)
	v_add_u32_e32 v6, v1, v0
	v_add3_u32 v3, v6, v2, v3
	s_nop 1
	v_mov_b32_dpp v6, v3 row_shr:1 row_mask:0xf bank_mask:0xf
	v_cndmask_b32_e64 v6, v6, 0, s[24:25]
	v_add_u32_e32 v3, v6, v3
	s_nop 1
	v_mov_b32_dpp v6, v3 row_shr:2 row_mask:0xf bank_mask:0xf
	v_cndmask_b32_e64 v6, 0, v6, s[22:23]
	v_add_u32_e32 v3, v3, v6
	;; [unrolled: 4-line block ×4, first 2 shown]
	s_nop 1
	v_mov_b32_dpp v6, v3 row_bcast:15 row_mask:0xf bank_mask:0xf
	v_cndmask_b32_e64 v6, v6, 0, s[16:17]
	v_add_u32_e32 v3, v3, v6
	s_nop 1
	v_mov_b32_dpp v6, v3 row_bcast:31 row_mask:0xf bank_mask:0xf
	v_cndmask_b32_e64 v6, 0, v6, s[12:13]
	v_add_u32_e32 v3, v3, v6
	s_and_saveexec_b64 s[26:27], s[14:15]
	s_cbranch_execz .LBB23_28
; %bb.27:
	ds_write_b32 v16, v3
.LBB23_28:
	s_or_b64 exec, exec, s[26:27]
	s_waitcnt lgkmcnt(0)
	s_barrier
	s_and_saveexec_b64 s[26:27], s[6:7]
	s_cbranch_execz .LBB23_30
; %bb.29:
	ds_read_b32 v6, v13
	s_waitcnt lgkmcnt(0)
	s_nop 0
	v_mov_b32_dpp v10, v6 row_shr:1 row_mask:0xf bank_mask:0xf
	v_cndmask_b32_e64 v10, v10, 0, s[10:11]
	v_add_u32_e32 v6, v10, v6
	s_nop 1
	v_mov_b32_dpp v10, v6 row_shr:2 row_mask:0xf bank_mask:0xf
	v_cndmask_b32_e64 v10, 0, v10, s[8:9]
	v_add_u32_e32 v6, v6, v10
	ds_write_b32 v13, v6
.LBB23_30:
	s_or_b64 exec, exec, s[26:27]
	v_mov_b32_e32 v6, 0
	v_mov_b32_e32 v10, 0
	s_waitcnt lgkmcnt(0)
	s_barrier
	s_and_saveexec_b64 s[26:27], s[4:5]
	s_cbranch_execz .LBB23_32
; %bb.31:
	ds_read_b32 v10, v15
.LBB23_32:
	s_or_b64 exec, exec, s[26:27]
	s_waitcnt lgkmcnt(0)
	v_add_u32_e32 v3, v10, v3
	ds_bpermute_b32 v3, v14, v3
	s_mov_b32 s26, 0
	s_mov_b32 s27, s26
	;; [unrolled: 1-line block ×4, first 2 shown]
	s_waitcnt lgkmcnt(0)
	v_cndmask_b32_e64 v3, v3, v10, s[0:1]
	v_cndmask_b32_e64 v10, v3, 0, s[2:3]
	v_add_u32_e32 v11, v10, v0
	v_add_u32_e32 v0, v11, v1
	;; [unrolled: 1-line block ×3, first 2 shown]
	ds_write2_b64 v12, v[10:11], v[0:1] offset0:2 offset1:3
	s_waitcnt lgkmcnt(0)
	s_barrier
	ds_read_b32 v0, v9 offset:16
	v_lshlrev_b32_e32 v1, 2, v7
	s_waitcnt lgkmcnt(0)
	s_barrier
	v_lshl_add_u32 v0, v0, 2, v1
	ds_write_b32 v0, v8
	s_waitcnt lgkmcnt(0)
	s_barrier
	ds_read_b32 v8, v18
	v_pk_mov_b32 v[0:1], s[26:27], s[26:27] op_sel:[0,1]
	v_pk_mov_b32 v[2:3], s[28:29], s[28:29] op_sel:[0,1]
	s_waitcnt lgkmcnt(0)
	s_barrier
	ds_write2_b64 v12, v[0:1], v[2:3] offset0:2 offset1:3
	v_mov_b32_e32 v0, 2
	v_lshlrev_b32_sdwa v0, v0, v8 dst_sel:DWORD dst_unused:UNUSED_PAD src0_sel:DWORD src1_sel:BYTE_2
	v_add_lshl_u32 v9, v0, v17, 2
	v_bfe_u32 v0, v8, 16, 1
	v_add_co_u32_e32 v1, vcc, -1, v0
	v_addc_co_u32_e64 v2, s[26:27], 0, -1, vcc
	v_cmp_ne_u32_e32 vcc, 0, v0
	v_xor_b32_e32 v0, vcc_hi, v2
	v_mov_b32_e32 v2, 30
	v_lshlrev_b32_sdwa v7, v2, v8 dst_sel:DWORD dst_unused:UNUSED_PAD src0_sel:DWORD src1_sel:WORD_1
	v_not_b32_e32 v2, v7
	v_xor_b32_e32 v1, vcc_lo, v1
	v_cmp_gt_i64_e32 vcc, 0, v[6:7]
	v_ashrrev_i32_e32 v2, 31, v2
	v_and_b32_e32 v1, exec_lo, v1
	v_xor_b32_e32 v3, vcc_hi, v2
	v_xor_b32_e32 v2, vcc_lo, v2
	v_and_b32_e32 v1, v1, v2
	v_mov_b32_e32 v2, 29
	v_lshlrev_b32_sdwa v7, v2, v8 dst_sel:DWORD dst_unused:UNUSED_PAD src0_sel:DWORD src1_sel:WORD_1
	v_not_b32_e32 v2, v7
	v_and_b32_e32 v0, exec_hi, v0
	v_cmp_gt_i64_e32 vcc, 0, v[6:7]
	v_ashrrev_i32_e32 v2, 31, v2
	v_and_b32_e32 v0, v0, v3
	v_xor_b32_e32 v3, vcc_hi, v2
	v_xor_b32_e32 v2, vcc_lo, v2
	v_and_b32_e32 v1, v1, v2
	v_mov_b32_e32 v2, 28
	v_lshlrev_b32_sdwa v7, v2, v8 dst_sel:DWORD dst_unused:UNUSED_PAD src0_sel:DWORD src1_sel:WORD_1
	v_not_b32_e32 v2, v7
	v_cmp_gt_i64_e32 vcc, 0, v[6:7]
	v_ashrrev_i32_e32 v2, 31, v2
	v_and_b32_e32 v0, v0, v3
	v_xor_b32_e32 v3, vcc_hi, v2
	v_xor_b32_e32 v2, vcc_lo, v2
	v_and_b32_e32 v1, v1, v2
	v_mov_b32_e32 v2, 27
	v_lshlrev_b32_sdwa v7, v2, v8 dst_sel:DWORD dst_unused:UNUSED_PAD src0_sel:DWORD src1_sel:WORD_1
	v_not_b32_e32 v2, v7
	;; [unrolled: 9-line block ×5, first 2 shown]
	v_cmp_gt_i64_e32 vcc, 0, v[6:7]
	v_ashrrev_i32_e32 v1, 31, v1
	v_and_b32_e32 v0, v0, v3
	v_xor_b32_e32 v3, vcc_hi, v1
	v_xor_b32_e32 v6, vcc_lo, v1
	v_and_b32_e32 v1, v0, v3
	v_and_b32_e32 v0, v2, v6
	v_mbcnt_lo_u32_b32 v2, v0, 0
	v_mbcnt_hi_u32_b32 v7, v1, v2
	v_cmp_eq_u32_e32 vcc, 0, v7
	v_cmp_ne_u64_e64 s[26:27], 0, v[0:1]
	s_and_b64 s[28:29], s[26:27], vcc
	s_waitcnt lgkmcnt(0)
	s_barrier
	s_waitcnt lgkmcnt(0)
	; wave barrier
	s_and_saveexec_b64 s[26:27], s[28:29]
	s_cbranch_execz .LBB23_34
; %bb.33:
	v_bcnt_u32_b32 v0, v0, 0
	v_bcnt_u32_b32 v0, v1, v0
	ds_write_b32 v9, v0 offset:16
.LBB23_34:
	s_or_b64 exec, exec, s[26:27]
	; wave barrier
	s_waitcnt lgkmcnt(0)
	s_barrier
	ds_read2_b64 v[0:3], v12 offset0:2 offset1:3
	s_waitcnt lgkmcnt(0)
	v_add_u32_e32 v6, v1, v0
	v_add3_u32 v3, v6, v2, v3
	s_nop 1
	v_mov_b32_dpp v6, v3 row_shr:1 row_mask:0xf bank_mask:0xf
	v_cndmask_b32_e64 v6, v6, 0, s[24:25]
	v_add_u32_e32 v3, v6, v3
	s_nop 1
	v_mov_b32_dpp v6, v3 row_shr:2 row_mask:0xf bank_mask:0xf
	v_cndmask_b32_e64 v6, 0, v6, s[22:23]
	v_add_u32_e32 v3, v3, v6
	s_nop 1
	v_mov_b32_dpp v6, v3 row_shr:4 row_mask:0xf bank_mask:0xf
	v_cndmask_b32_e64 v6, 0, v6, s[20:21]
	v_add_u32_e32 v3, v3, v6
	s_nop 1
	v_mov_b32_dpp v6, v3 row_shr:8 row_mask:0xf bank_mask:0xf
	v_cndmask_b32_e64 v6, 0, v6, s[18:19]
	v_add_u32_e32 v3, v3, v6
	s_nop 1
	v_mov_b32_dpp v6, v3 row_bcast:15 row_mask:0xf bank_mask:0xf
	v_cndmask_b32_e64 v6, v6, 0, s[16:17]
	v_add_u32_e32 v3, v3, v6
	s_nop 1
	v_mov_b32_dpp v6, v3 row_bcast:31 row_mask:0xf bank_mask:0xf
	v_cndmask_b32_e64 v6, 0, v6, s[12:13]
	v_add_u32_e32 v3, v3, v6
	s_and_saveexec_b64 s[26:27], s[14:15]
	s_cbranch_execz .LBB23_36
; %bb.35:
	ds_write_b32 v16, v3
.LBB23_36:
	s_or_b64 exec, exec, s[26:27]
	s_waitcnt lgkmcnt(0)
	s_barrier
	s_and_saveexec_b64 s[26:27], s[6:7]
	s_cbranch_execz .LBB23_38
; %bb.37:
	ds_read_b32 v6, v13
	s_waitcnt lgkmcnt(0)
	s_nop 0
	v_mov_b32_dpp v10, v6 row_shr:1 row_mask:0xf bank_mask:0xf
	v_cndmask_b32_e64 v10, v10, 0, s[10:11]
	v_add_u32_e32 v6, v10, v6
	s_nop 1
	v_mov_b32_dpp v10, v6 row_shr:2 row_mask:0xf bank_mask:0xf
	v_cndmask_b32_e64 v10, 0, v10, s[8:9]
	v_add_u32_e32 v6, v6, v10
	ds_write_b32 v13, v6
.LBB23_38:
	s_or_b64 exec, exec, s[26:27]
	v_mov_b32_e32 v6, 0
	v_mov_b32_e32 v10, 0
	s_waitcnt lgkmcnt(0)
	s_barrier
	s_and_saveexec_b64 s[26:27], s[4:5]
	s_cbranch_execz .LBB23_40
; %bb.39:
	ds_read_b32 v10, v15
.LBB23_40:
	s_or_b64 exec, exec, s[26:27]
	s_waitcnt lgkmcnt(0)
	v_add_u32_e32 v3, v10, v3
	ds_bpermute_b32 v3, v14, v3
	s_mov_b32 s26, 0
	s_mov_b32 s27, s26
	;; [unrolled: 1-line block ×4, first 2 shown]
	s_waitcnt lgkmcnt(0)
	v_cndmask_b32_e64 v3, v3, v10, s[0:1]
	v_cndmask_b32_e64 v10, v3, 0, s[2:3]
	v_add_u32_e32 v11, v10, v0
	v_add_u32_e32 v0, v11, v1
	;; [unrolled: 1-line block ×3, first 2 shown]
	ds_write2_b64 v12, v[10:11], v[0:1] offset0:2 offset1:3
	s_waitcnt lgkmcnt(0)
	s_barrier
	ds_read_b32 v0, v9 offset:16
	v_lshlrev_b32_e32 v1, 2, v7
	s_waitcnt lgkmcnt(0)
	s_barrier
	v_lshl_add_u32 v0, v0, 2, v1
	ds_write_b32 v0, v8
	s_waitcnt lgkmcnt(0)
	s_barrier
	ds_read_b32 v8, v18
	v_pk_mov_b32 v[0:1], s[26:27], s[26:27] op_sel:[0,1]
	v_pk_mov_b32 v[2:3], s[28:29], s[28:29] op_sel:[0,1]
	s_waitcnt lgkmcnt(0)
	s_barrier
	ds_write2_b64 v12, v[0:1], v[2:3] offset0:2 offset1:3
	v_mov_b32_e32 v0, 2
	v_lshlrev_b32_sdwa v0, v0, v8 dst_sel:DWORD dst_unused:UNUSED_PAD src0_sel:DWORD src1_sel:BYTE_3
	v_add_lshl_u32 v9, v0, v17, 2
	v_bfe_u32 v0, v8, 24, 1
	v_add_co_u32_e32 v1, vcc, -1, v0
	v_addc_co_u32_e64 v2, s[26:27], 0, -1, vcc
	v_cmp_ne_u32_e32 vcc, 0, v0
	v_xor_b32_e32 v0, vcc_hi, v2
	v_mov_b32_e32 v2, 30
	v_lshlrev_b32_sdwa v7, v2, v8 dst_sel:DWORD dst_unused:UNUSED_PAD src0_sel:DWORD src1_sel:BYTE_3
	v_not_b32_e32 v2, v7
	v_xor_b32_e32 v1, vcc_lo, v1
	v_cmp_gt_i64_e32 vcc, 0, v[6:7]
	v_ashrrev_i32_e32 v2, 31, v2
	v_and_b32_e32 v1, exec_lo, v1
	v_xor_b32_e32 v3, vcc_hi, v2
	v_xor_b32_e32 v2, vcc_lo, v2
	v_and_b32_e32 v1, v1, v2
	v_mov_b32_e32 v2, 29
	v_lshlrev_b32_sdwa v7, v2, v8 dst_sel:DWORD dst_unused:UNUSED_PAD src0_sel:DWORD src1_sel:BYTE_3
	v_not_b32_e32 v2, v7
	v_and_b32_e32 v0, exec_hi, v0
	v_cmp_gt_i64_e32 vcc, 0, v[6:7]
	v_ashrrev_i32_e32 v2, 31, v2
	v_and_b32_e32 v0, v0, v3
	v_xor_b32_e32 v3, vcc_hi, v2
	v_xor_b32_e32 v2, vcc_lo, v2
	v_and_b32_e32 v1, v1, v2
	v_mov_b32_e32 v2, 28
	v_lshlrev_b32_sdwa v7, v2, v8 dst_sel:DWORD dst_unused:UNUSED_PAD src0_sel:DWORD src1_sel:BYTE_3
	v_not_b32_e32 v2, v7
	v_cmp_gt_i64_e32 vcc, 0, v[6:7]
	v_ashrrev_i32_e32 v2, 31, v2
	v_and_b32_e32 v0, v0, v3
	v_xor_b32_e32 v3, vcc_hi, v2
	v_xor_b32_e32 v2, vcc_lo, v2
	v_and_b32_e32 v1, v1, v2
	v_mov_b32_e32 v2, 27
	v_lshlrev_b32_sdwa v7, v2, v8 dst_sel:DWORD dst_unused:UNUSED_PAD src0_sel:DWORD src1_sel:BYTE_3
	v_not_b32_e32 v2, v7
	v_cmp_gt_i64_e32 vcc, 0, v[6:7]
	v_ashrrev_i32_e32 v2, 31, v2
	v_and_b32_e32 v0, v0, v3
	v_xor_b32_e32 v3, vcc_hi, v2
	v_xor_b32_e32 v2, vcc_lo, v2
	v_and_b32_e32 v1, v1, v2
	v_mov_b32_e32 v2, 26
	v_lshlrev_b32_sdwa v7, v2, v8 dst_sel:DWORD dst_unused:UNUSED_PAD src0_sel:DWORD src1_sel:BYTE_3
	v_not_b32_e32 v2, v7
	v_cmp_gt_i64_e32 vcc, 0, v[6:7]
	v_ashrrev_i32_e32 v2, 31, v2
	v_and_b32_e32 v0, v0, v3
	v_xor_b32_e32 v3, vcc_hi, v2
	v_xor_b32_e32 v2, vcc_lo, v2
	v_and_b32_e32 v1, v1, v2
	v_mov_b32_e32 v2, 25
	v_lshlrev_b32_sdwa v7, v2, v8 dst_sel:DWORD dst_unused:UNUSED_PAD src0_sel:DWORD src1_sel:BYTE_3
	v_not_b32_e32 v2, v7
	v_cmp_gt_i64_e32 vcc, 0, v[6:7]
	v_ashrrev_i32_e32 v2, 31, v2
	v_and_b32_e32 v0, v0, v3
	v_xor_b32_e32 v3, vcc_hi, v2
	v_xor_b32_e32 v2, vcc_lo, v2
	v_and_b32_e32 v7, 0xff000000, v8
	v_and_b32_e32 v2, v1, v2
	v_not_b32_e32 v1, v7
	v_cmp_gt_i64_e32 vcc, 0, v[6:7]
	v_ashrrev_i32_e32 v1, 31, v1
	v_and_b32_e32 v0, v0, v3
	v_xor_b32_e32 v3, vcc_hi, v1
	v_xor_b32_e32 v6, vcc_lo, v1
	v_and_b32_e32 v1, v0, v3
	v_and_b32_e32 v0, v2, v6
	v_mbcnt_lo_u32_b32 v2, v0, 0
	v_mbcnt_hi_u32_b32 v6, v1, v2
	v_cmp_eq_u32_e32 vcc, 0, v6
	v_cmp_ne_u64_e64 s[26:27], 0, v[0:1]
	s_and_b64 s[28:29], s[26:27], vcc
	s_waitcnt lgkmcnt(0)
	s_barrier
	s_waitcnt lgkmcnt(0)
	; wave barrier
	s_and_saveexec_b64 s[26:27], s[28:29]
	s_cbranch_execz .LBB23_42
; %bb.41:
	v_bcnt_u32_b32 v0, v0, 0
	v_bcnt_u32_b32 v0, v1, v0
	ds_write_b32 v9, v0 offset:16
.LBB23_42:
	s_or_b64 exec, exec, s[26:27]
	; wave barrier
	s_waitcnt lgkmcnt(0)
	s_barrier
	ds_read2_b64 v[0:3], v12 offset0:2 offset1:3
	s_waitcnt lgkmcnt(0)
	v_add_u32_e32 v7, v1, v0
	v_add3_u32 v3, v7, v2, v3
	s_nop 1
	v_mov_b32_dpp v7, v3 row_shr:1 row_mask:0xf bank_mask:0xf
	v_cndmask_b32_e64 v7, v7, 0, s[24:25]
	v_add_u32_e32 v3, v7, v3
	s_nop 1
	v_mov_b32_dpp v7, v3 row_shr:2 row_mask:0xf bank_mask:0xf
	v_cndmask_b32_e64 v7, 0, v7, s[22:23]
	v_add_u32_e32 v3, v3, v7
	;; [unrolled: 4-line block ×4, first 2 shown]
	s_nop 1
	v_mov_b32_dpp v7, v3 row_bcast:15 row_mask:0xf bank_mask:0xf
	v_cndmask_b32_e64 v7, v7, 0, s[16:17]
	v_add_u32_e32 v3, v3, v7
	s_nop 1
	v_mov_b32_dpp v7, v3 row_bcast:31 row_mask:0xf bank_mask:0xf
	v_cndmask_b32_e64 v7, 0, v7, s[12:13]
	v_add_u32_e32 v3, v3, v7
	s_and_saveexec_b64 s[12:13], s[14:15]
	s_cbranch_execz .LBB23_44
; %bb.43:
	ds_write_b32 v16, v3
.LBB23_44:
	s_or_b64 exec, exec, s[12:13]
	s_waitcnt lgkmcnt(0)
	s_barrier
	s_and_saveexec_b64 s[12:13], s[6:7]
	s_cbranch_execz .LBB23_46
; %bb.45:
	ds_read_b32 v7, v13
	s_waitcnt lgkmcnt(0)
	s_nop 0
	v_mov_b32_dpp v10, v7 row_shr:1 row_mask:0xf bank_mask:0xf
	v_cndmask_b32_e64 v10, v10, 0, s[10:11]
	v_add_u32_e32 v7, v10, v7
	s_nop 1
	v_mov_b32_dpp v10, v7 row_shr:2 row_mask:0xf bank_mask:0xf
	v_cndmask_b32_e64 v10, 0, v10, s[8:9]
	v_add_u32_e32 v7, v7, v10
	ds_write_b32 v13, v7
.LBB23_46:
	s_or_b64 exec, exec, s[12:13]
	v_mov_b32_e32 v7, 0
	s_waitcnt lgkmcnt(0)
	s_barrier
	s_and_saveexec_b64 s[6:7], s[4:5]
	s_cbranch_execz .LBB23_48
; %bb.47:
	ds_read_b32 v7, v15
.LBB23_48:
	s_or_b64 exec, exec, s[6:7]
	s_waitcnt lgkmcnt(0)
	v_add_u32_e32 v3, v7, v3
	ds_bpermute_b32 v3, v14, v3
	s_waitcnt lgkmcnt(0)
	v_cndmask_b32_e64 v3, v3, v7, s[0:1]
	v_cndmask_b32_e64 v10, v3, 0, s[2:3]
	v_add_u32_e32 v11, v10, v0
	v_add_u32_e32 v0, v11, v1
	;; [unrolled: 1-line block ×3, first 2 shown]
	ds_write2_b64 v12, v[10:11], v[0:1] offset0:2 offset1:3
	s_waitcnt lgkmcnt(0)
	s_barrier
	ds_read_b32 v0, v9 offset:16
	v_lshlrev_b32_e32 v1, 2, v6
	s_waitcnt lgkmcnt(0)
	s_barrier
	v_lshl_add_u32 v0, v0, 2, v1
	ds_write_b32 v0, v8
	s_waitcnt lgkmcnt(0)
	s_barrier
	ds_read_b32 v0, v13
	s_waitcnt lgkmcnt(0)
	global_store_dword v[4:5], v0, off
	s_endpgm
	.section	.rodata,"a",@progbits
	.p2align	6, 0x0
	.amdhsa_kernel _Z15sort_key_kernelILj256ELj1ELb0ELb0EjEvPT3_jj
		.amdhsa_group_segment_fixed_size 4112
		.amdhsa_private_segment_fixed_size 0
		.amdhsa_kernarg_size 272
		.amdhsa_user_sgpr_count 6
		.amdhsa_user_sgpr_private_segment_buffer 1
		.amdhsa_user_sgpr_dispatch_ptr 0
		.amdhsa_user_sgpr_queue_ptr 0
		.amdhsa_user_sgpr_kernarg_segment_ptr 1
		.amdhsa_user_sgpr_dispatch_id 0
		.amdhsa_user_sgpr_flat_scratch_init 0
		.amdhsa_user_sgpr_kernarg_preload_length 0
		.amdhsa_user_sgpr_kernarg_preload_offset 0
		.amdhsa_user_sgpr_private_segment_size 0
		.amdhsa_uses_dynamic_stack 0
		.amdhsa_system_sgpr_private_segment_wavefront_offset 0
		.amdhsa_system_sgpr_workgroup_id_x 1
		.amdhsa_system_sgpr_workgroup_id_y 0
		.amdhsa_system_sgpr_workgroup_id_z 0
		.amdhsa_system_sgpr_workgroup_info 0
		.amdhsa_system_vgpr_workitem_id 2
		.amdhsa_next_free_vgpr 24
		.amdhsa_next_free_sgpr 36
		.amdhsa_accum_offset 24
		.amdhsa_reserve_vcc 1
		.amdhsa_reserve_flat_scratch 0
		.amdhsa_float_round_mode_32 0
		.amdhsa_float_round_mode_16_64 0
		.amdhsa_float_denorm_mode_32 3
		.amdhsa_float_denorm_mode_16_64 3
		.amdhsa_dx10_clamp 1
		.amdhsa_ieee_mode 1
		.amdhsa_fp16_overflow 0
		.amdhsa_tg_split 0
		.amdhsa_exception_fp_ieee_invalid_op 0
		.amdhsa_exception_fp_denorm_src 0
		.amdhsa_exception_fp_ieee_div_zero 0
		.amdhsa_exception_fp_ieee_overflow 0
		.amdhsa_exception_fp_ieee_underflow 0
		.amdhsa_exception_fp_ieee_inexact 0
		.amdhsa_exception_int_div_zero 0
	.end_amdhsa_kernel
	.section	.text._Z15sort_key_kernelILj256ELj1ELb0ELb0EjEvPT3_jj,"axG",@progbits,_Z15sort_key_kernelILj256ELj1ELb0ELb0EjEvPT3_jj,comdat
.Lfunc_end23:
	.size	_Z15sort_key_kernelILj256ELj1ELb0ELb0EjEvPT3_jj, .Lfunc_end23-_Z15sort_key_kernelILj256ELj1ELb0ELb0EjEvPT3_jj
                                        ; -- End function
	.section	.AMDGPU.csdata,"",@progbits
; Kernel info:
; codeLenInByte = 4808
; NumSgprs: 40
; NumVgprs: 24
; NumAgprs: 0
; TotalNumVgprs: 24
; ScratchSize: 0
; MemoryBound: 0
; FloatMode: 240
; IeeeMode: 1
; LDSByteSize: 4112 bytes/workgroup (compile time only)
; SGPRBlocks: 4
; VGPRBlocks: 2
; NumSGPRsForWavesPerEU: 40
; NumVGPRsForWavesPerEU: 24
; AccumOffset: 24
; Occupancy: 8
; WaveLimiterHint : 0
; COMPUTE_PGM_RSRC2:SCRATCH_EN: 0
; COMPUTE_PGM_RSRC2:USER_SGPR: 6
; COMPUTE_PGM_RSRC2:TRAP_HANDLER: 0
; COMPUTE_PGM_RSRC2:TGID_X_EN: 1
; COMPUTE_PGM_RSRC2:TGID_Y_EN: 0
; COMPUTE_PGM_RSRC2:TGID_Z_EN: 0
; COMPUTE_PGM_RSRC2:TIDIG_COMP_CNT: 2
; COMPUTE_PGM_RSRC3_GFX90A:ACCUM_OFFSET: 5
; COMPUTE_PGM_RSRC3_GFX90A:TG_SPLIT: 0
	.section	.text._Z15sort_key_kernelILj128ELj1ELb0ELb0EiEvPT3_jj,"axG",@progbits,_Z15sort_key_kernelILj128ELj1ELb0ELb0EiEvPT3_jj,comdat
	.protected	_Z15sort_key_kernelILj128ELj1ELb0ELb0EiEvPT3_jj ; -- Begin function _Z15sort_key_kernelILj128ELj1ELb0ELb0EiEvPT3_jj
	.globl	_Z15sort_key_kernelILj128ELj1ELb0ELb0EiEvPT3_jj
	.p2align	8
	.type	_Z15sort_key_kernelILj128ELj1ELb0ELb0EiEvPT3_jj,@function
_Z15sort_key_kernelILj128ELj1ELb0ELb0EiEvPT3_jj: ; @_Z15sort_key_kernelILj128ELj1ELb0ELb0EiEvPT3_jj
; %bb.0:
	s_load_dwordx4 s[24:27], s[4:5], 0x0
	s_load_dword s33, s[4:5], 0x1c
	s_lshl_b32 s28, s6, 7
	s_mov_b32 s29, 0
	s_lshl_b64 s[0:1], s[28:29], 2
	s_waitcnt lgkmcnt(0)
	s_add_u32 s30, s24, s0
	v_and_b32_e32 v2, 0x3ff, v0
	s_addc_u32 s31, s25, s1
	v_lshlrev_b32_e32 v1, 2, v2
	global_load_dword v20, v1, s[30:31]
	v_mbcnt_lo_u32_b32 v3, -1, 0
	v_mbcnt_hi_u32_b32 v3, -1, v3
	v_and_b32_e32 v4, 15, v3
	v_and_b32_e32 v7, 64, v2
	v_add_u32_e32 v8, -1, v3
	v_and_b32_e32 v9, 64, v3
	v_and_b32_e32 v5, 16, v3
	v_cmp_eq_u32_e64 s[22:23], 0, v4
	v_cmp_lt_u32_e64 s[20:21], 1, v4
	v_cmp_lt_u32_e64 s[16:17], 3, v4
	;; [unrolled: 1-line block ×3, first 2 shown]
	v_or_b32_e32 v4, 63, v7
	v_cmp_lt_i32_e32 vcc, v8, v9
	s_cmp_eq_u32 s26, 0
	v_cmp_lt_u32_e64 s[10:11], 31, v3
	v_cmp_eq_u32_e64 s[0:1], 0, v3
	v_and_b32_e32 v13, 1, v3
	v_cmp_eq_u32_e64 s[12:13], 0, v5
	v_cndmask_b32_e32 v5, v8, v3, vcc
	v_add_lshl_u32 v17, v3, v7, 2
	v_cmp_eq_u32_e64 s[18:19], v4, v2
	v_mov_b32_e32 v3, s31
	v_add_co_u32_e32 v4, vcc, s30, v1
	s_cselect_b64 s[30:31], -1, 0
	s_cmp_eq_u32 s27, 32
	v_bfe_u32 v6, v0, 10, 10
	v_bfe_u32 v0, v0, 20, 10
	s_cselect_b64 s[34:35], -1, 0
	s_lshr_b32 s28, s33, 16
	v_lshrrev_b32_e32 v10, 4, v2
	s_and_b32 s33, s33, 0xffff
	v_mad_u32_u24 v0, v0, s28, v6
	v_lshlrev_b32_e32 v12, 4, v2
	v_mul_i32_i24_e32 v11, -12, v2
	v_and_b32_e32 v16, 4, v10
	v_lshlrev_b32_e32 v14, 2, v5
	v_addc_co_u32_e32 v5, vcc, 0, v3, vcc
	s_and_b64 s[30:31], s[30:31], s[34:35]
	v_mad_u64_u32 v[0:1], s[34:35], v0, s33, v[2:3]
	s_mov_b64 s[24:25], -1
	v_cmp_gt_u32_e64 s[6:7], 2, v2
	v_cmp_lt_u32_e64 s[4:5], 63, v2
	v_cmp_eq_u32_e64 s[2:3], 0, v2
	v_cmp_eq_u32_e64 s[8:9], 0, v13
	v_add_u32_e32 v13, v12, v11
	v_add_u32_e32 v15, -4, v16
	s_and_b64 vcc, exec, s[30:31]
	v_lshrrev_b32_e32 v18, 6, v0
	s_waitcnt vmcnt(0)
	v_xor_b32_e32 v19, 0x80000000, v20
	s_cbranch_vccnz .LBB24_14
; %bb.1:
	s_mov_b32 s28, s29
	s_mov_b32 s24, s29
	s_mov_b32 s25, s29
	s_sub_i32 s30, s27, s26
	v_pk_mov_b32 v[6:7], s[28:29], s[28:29] op_sel:[0,1]
	v_pk_mov_b32 v[8:9], s[24:25], s[24:25] op_sel:[0,1]
	v_mov_b32_e32 v10, 0
	v_mov_b32_e32 v1, v19
	s_branch .LBB24_3
.LBB24_2:                               ;   in Loop: Header=BB24_3 Depth=1
	s_barrier
	ds_write_b32 v0, v21
	s_waitcnt lgkmcnt(0)
	s_barrier
	ds_read_b32 v1, v17
	s_add_i32 s30, s30, -8
	s_waitcnt lgkmcnt(0)
	s_barrier
	s_cbranch_execz .LBB24_13
.LBB24_3:                               ; =>This Inner Loop Header: Depth=1
	v_mov_b32_e32 v21, v1
	s_min_u32 s24, s30, 8
	v_lshrrev_b32_e32 v0, s26, v21
	v_bfe_u32 v0, v0, 0, s24
	v_lshl_add_u32 v1, v0, 1, v18
	v_lshl_add_u32 v22, v1, 2, 8
	v_and_b32_e32 v1, 1, v0
	v_add_co_u32_e32 v2, vcc, -1, v1
	v_addc_co_u32_e64 v3, s[24:25], 0, -1, vcc
	v_cmp_ne_u32_e32 vcc, 0, v1
	v_lshlrev_b32_e32 v11, 30, v0
	v_xor_b32_e32 v1, vcc_hi, v3
	v_not_b32_e32 v3, v11
	v_xor_b32_e32 v2, vcc_lo, v2
	v_cmp_gt_i64_e32 vcc, 0, v[10:11]
	v_ashrrev_i32_e32 v3, 31, v3
	v_and_b32_e32 v1, exec_hi, v1
	v_xor_b32_e32 v11, vcc_hi, v3
	v_and_b32_e32 v2, exec_lo, v2
	v_xor_b32_e32 v3, vcc_lo, v3
	v_and_b32_e32 v1, v1, v11
	v_lshlrev_b32_e32 v11, 29, v0
	v_and_b32_e32 v2, v2, v3
	v_not_b32_e32 v3, v11
	v_cmp_gt_i64_e32 vcc, 0, v[10:11]
	v_ashrrev_i32_e32 v3, 31, v3
	v_xor_b32_e32 v11, vcc_hi, v3
	v_xor_b32_e32 v3, vcc_lo, v3
	v_and_b32_e32 v1, v1, v11
	v_lshlrev_b32_e32 v11, 28, v0
	v_and_b32_e32 v2, v2, v3
	v_not_b32_e32 v3, v11
	v_cmp_gt_i64_e32 vcc, 0, v[10:11]
	v_ashrrev_i32_e32 v3, 31, v3
	v_xor_b32_e32 v11, vcc_hi, v3
	;; [unrolled: 8-line block ×5, first 2 shown]
	v_and_b32_e32 v1, v1, v11
	v_lshlrev_b32_e32 v11, 24, v0
	v_not_b32_e32 v0, v11
	v_xor_b32_e32 v3, vcc_lo, v3
	v_cmp_gt_i64_e32 vcc, 0, v[10:11]
	v_ashrrev_i32_e32 v0, 31, v0
	v_and_b32_e32 v2, v2, v3
	v_xor_b32_e32 v3, vcc_hi, v0
	v_xor_b32_e32 v0, vcc_lo, v0
	v_and_b32_e32 v0, v2, v0
	v_and_b32_e32 v1, v1, v3
	v_mbcnt_lo_u32_b32 v2, v0, 0
	v_mbcnt_hi_u32_b32 v11, v1, v2
	v_cmp_eq_u32_e32 vcc, 0, v11
	v_cmp_ne_u64_e64 s[24:25], 0, v[0:1]
	s_and_b64 s[28:29], s[24:25], vcc
	ds_write2_b64 v12, v[6:7], v[8:9] offset0:1 offset1:2
	s_waitcnt lgkmcnt(0)
	s_barrier
	s_waitcnt lgkmcnt(0)
	; wave barrier
	s_and_saveexec_b64 s[24:25], s[28:29]
	s_cbranch_execz .LBB24_5
; %bb.4:                                ;   in Loop: Header=BB24_3 Depth=1
	v_bcnt_u32_b32 v0, v0, 0
	v_bcnt_u32_b32 v0, v1, v0
	ds_write_b32 v22, v0
.LBB24_5:                               ;   in Loop: Header=BB24_3 Depth=1
	s_or_b64 exec, exec, s[24:25]
	; wave barrier
	s_waitcnt lgkmcnt(0)
	s_barrier
	ds_read2_b64 v[0:3], v12 offset0:1 offset1:2
	s_waitcnt lgkmcnt(0)
	v_add_u32_e32 v23, v1, v0
	v_add3_u32 v3, v23, v2, v3
	s_nop 1
	v_mov_b32_dpp v23, v3 row_shr:1 row_mask:0xf bank_mask:0xf
	v_cndmask_b32_e64 v23, v23, 0, s[22:23]
	v_add_u32_e32 v3, v23, v3
	s_nop 1
	v_mov_b32_dpp v23, v3 row_shr:2 row_mask:0xf bank_mask:0xf
	v_cndmask_b32_e64 v23, 0, v23, s[20:21]
	v_add_u32_e32 v3, v3, v23
	;; [unrolled: 4-line block ×4, first 2 shown]
	s_nop 1
	v_mov_b32_dpp v23, v3 row_bcast:15 row_mask:0xf bank_mask:0xf
	v_cndmask_b32_e64 v23, v23, 0, s[12:13]
	v_add_u32_e32 v3, v3, v23
	s_nop 1
	v_mov_b32_dpp v23, v3 row_bcast:31 row_mask:0xf bank_mask:0xf
	v_cndmask_b32_e64 v23, 0, v23, s[10:11]
	v_add_u32_e32 v3, v3, v23
	s_and_saveexec_b64 s[24:25], s[18:19]
	s_cbranch_execz .LBB24_7
; %bb.6:                                ;   in Loop: Header=BB24_3 Depth=1
	ds_write_b32 v16, v3
.LBB24_7:                               ;   in Loop: Header=BB24_3 Depth=1
	s_or_b64 exec, exec, s[24:25]
	s_waitcnt lgkmcnt(0)
	s_barrier
	s_and_saveexec_b64 s[24:25], s[6:7]
	s_cbranch_execz .LBB24_9
; %bb.8:                                ;   in Loop: Header=BB24_3 Depth=1
	ds_read_b32 v23, v13
	s_waitcnt lgkmcnt(0)
	s_nop 0
	v_mov_b32_dpp v24, v23 row_shr:1 row_mask:0xf bank_mask:0xf
	v_cndmask_b32_e64 v24, v24, 0, s[8:9]
	v_add_u32_e32 v23, v24, v23
	ds_write_b32 v13, v23
.LBB24_9:                               ;   in Loop: Header=BB24_3 Depth=1
	s_or_b64 exec, exec, s[24:25]
	v_mov_b32_e32 v23, 0
	s_waitcnt lgkmcnt(0)
	s_barrier
	s_and_saveexec_b64 s[24:25], s[4:5]
	s_cbranch_execz .LBB24_11
; %bb.10:                               ;   in Loop: Header=BB24_3 Depth=1
	ds_read_b32 v23, v15
.LBB24_11:                              ;   in Loop: Header=BB24_3 Depth=1
	s_or_b64 exec, exec, s[24:25]
	s_waitcnt lgkmcnt(0)
	v_add_u32_e32 v3, v23, v3
	ds_bpermute_b32 v3, v14, v3
	s_add_i32 s26, s26, 8
	s_cmp_ge_u32 s26, s27
	s_waitcnt lgkmcnt(0)
	v_cndmask_b32_e64 v3, v3, v23, s[0:1]
	v_cndmask_b32_e64 v24, v3, 0, s[2:3]
	v_add_u32_e32 v25, v24, v0
	v_add_u32_e32 v0, v25, v1
	;; [unrolled: 1-line block ×3, first 2 shown]
	ds_write2_b64 v12, v[24:25], v[0:1] offset0:1 offset1:2
	s_waitcnt lgkmcnt(0)
	s_barrier
	ds_read_b32 v0, v22
	v_lshlrev_b32_e32 v1, 2, v11
	s_waitcnt lgkmcnt(0)
	v_lshl_add_u32 v0, v0, 2, v1
	s_cbranch_scc0 .LBB24_2
; %bb.12:
                                        ; implicit-def: $vgpr1
                                        ; implicit-def: $sgpr30
.LBB24_13:
	s_mov_b64 s[24:25], 0
	s_barrier
	ds_write_b32 v0, v21
	s_waitcnt lgkmcnt(0)
	s_barrier
.LBB24_14:
	s_and_b64 vcc, exec, s[24:25]
	s_cbranch_vccz .LBB24_48
; %bb.15:
	s_mov_b32 s24, 0
	s_mov_b32 s25, s24
	;; [unrolled: 1-line block ×4, first 2 shown]
	v_pk_mov_b32 v[0:1], s[24:25], s[24:25] op_sel:[0,1]
	v_pk_mov_b32 v[2:3], s[26:27], s[26:27] op_sel:[0,1]
	ds_write2_b64 v12, v[0:1], v[2:3] offset0:1 offset1:2
	v_and_b32_e32 v1, 1, v20
	v_add_co_u32_e32 v2, vcc, -1, v1
	v_mov_b32_e32 v0, 1
	v_addc_co_u32_e64 v3, s[24:25], 0, -1, vcc
	v_cmp_ne_u32_e32 vcc, 0, v1
	v_lshlrev_b32_sdwa v0, v0, v20 dst_sel:DWORD dst_unused:UNUSED_PAD src0_sel:DWORD src1_sel:BYTE_0
	v_xor_b32_e32 v1, vcc_hi, v3
	v_add_lshl_u32 v7, v0, v18, 2
	v_mov_b32_e32 v0, 0
	v_and_b32_e32 v3, exec_hi, v1
	v_lshlrev_b32_e32 v1, 30, v20
	v_xor_b32_e32 v2, vcc_lo, v2
	v_cmp_gt_i64_e32 vcc, 0, v[0:1]
	v_not_b32_e32 v1, v1
	v_ashrrev_i32_e32 v1, 31, v1
	v_and_b32_e32 v2, exec_lo, v2
	v_xor_b32_e32 v6, vcc_hi, v1
	v_xor_b32_e32 v1, vcc_lo, v1
	v_and_b32_e32 v2, v2, v1
	v_lshlrev_b32_e32 v1, 29, v20
	v_cmp_gt_i64_e32 vcc, 0, v[0:1]
	v_not_b32_e32 v1, v1
	v_ashrrev_i32_e32 v1, 31, v1
	v_and_b32_e32 v3, v3, v6
	v_xor_b32_e32 v6, vcc_hi, v1
	v_xor_b32_e32 v1, vcc_lo, v1
	v_and_b32_e32 v2, v2, v1
	v_lshlrev_b32_e32 v1, 28, v20
	v_cmp_gt_i64_e32 vcc, 0, v[0:1]
	v_not_b32_e32 v1, v1
	v_ashrrev_i32_e32 v1, 31, v1
	v_and_b32_e32 v3, v3, v6
	;; [unrolled: 8-line block ×5, first 2 shown]
	v_xor_b32_e32 v6, vcc_hi, v1
	v_xor_b32_e32 v1, vcc_lo, v1
	v_and_b32_e32 v2, v2, v1
	v_lshlrev_b32_e32 v1, 24, v20
	v_cmp_gt_i64_e32 vcc, 0, v[0:1]
	v_not_b32_e32 v0, v1
	v_ashrrev_i32_e32 v0, 31, v0
	v_xor_b32_e32 v1, vcc_hi, v0
	v_xor_b32_e32 v0, vcc_lo, v0
	v_and_b32_e32 v3, v3, v6
	v_and_b32_e32 v0, v2, v0
	;; [unrolled: 1-line block ×3, first 2 shown]
	v_mbcnt_lo_u32_b32 v2, v0, 0
	v_mbcnt_hi_u32_b32 v8, v1, v2
	v_cmp_eq_u32_e32 vcc, 0, v8
	v_cmp_ne_u64_e64 s[24:25], 0, v[0:1]
	s_and_b64 s[26:27], s[24:25], vcc
	s_waitcnt lgkmcnt(0)
	s_barrier
	s_waitcnt lgkmcnt(0)
	; wave barrier
	s_and_saveexec_b64 s[24:25], s[26:27]
	s_cbranch_execz .LBB24_17
; %bb.16:
	v_bcnt_u32_b32 v0, v0, 0
	v_bcnt_u32_b32 v0, v1, v0
	ds_write_b32 v7, v0 offset:8
.LBB24_17:
	s_or_b64 exec, exec, s[24:25]
	; wave barrier
	s_waitcnt lgkmcnt(0)
	s_barrier
	ds_read2_b64 v[0:3], v12 offset0:1 offset1:2
	s_waitcnt lgkmcnt(0)
	v_add_u32_e32 v6, v1, v0
	v_add3_u32 v3, v6, v2, v3
	s_nop 1
	v_mov_b32_dpp v6, v3 row_shr:1 row_mask:0xf bank_mask:0xf
	v_cndmask_b32_e64 v6, v6, 0, s[22:23]
	v_add_u32_e32 v3, v6, v3
	s_nop 1
	v_mov_b32_dpp v6, v3 row_shr:2 row_mask:0xf bank_mask:0xf
	v_cndmask_b32_e64 v6, 0, v6, s[20:21]
	v_add_u32_e32 v3, v3, v6
	;; [unrolled: 4-line block ×4, first 2 shown]
	s_nop 1
	v_mov_b32_dpp v6, v3 row_bcast:15 row_mask:0xf bank_mask:0xf
	v_cndmask_b32_e64 v6, v6, 0, s[12:13]
	v_add_u32_e32 v3, v3, v6
	s_nop 1
	v_mov_b32_dpp v6, v3 row_bcast:31 row_mask:0xf bank_mask:0xf
	v_cndmask_b32_e64 v6, 0, v6, s[10:11]
	v_add_u32_e32 v3, v3, v6
	s_and_saveexec_b64 s[24:25], s[18:19]
	s_cbranch_execz .LBB24_19
; %bb.18:
	ds_write_b32 v16, v3
.LBB24_19:
	s_or_b64 exec, exec, s[24:25]
	s_waitcnt lgkmcnt(0)
	s_barrier
	s_and_saveexec_b64 s[24:25], s[6:7]
	s_cbranch_execz .LBB24_21
; %bb.20:
	ds_read_b32 v6, v13
	s_waitcnt lgkmcnt(0)
	s_nop 0
	v_mov_b32_dpp v9, v6 row_shr:1 row_mask:0xf bank_mask:0xf
	v_cndmask_b32_e64 v9, v9, 0, s[8:9]
	v_add_u32_e32 v6, v9, v6
	ds_write_b32 v13, v6
.LBB24_21:
	s_or_b64 exec, exec, s[24:25]
	v_mov_b32_e32 v6, 0
	v_mov_b32_e32 v9, 0
	s_waitcnt lgkmcnt(0)
	s_barrier
	s_and_saveexec_b64 s[24:25], s[4:5]
	s_cbranch_execz .LBB24_23
; %bb.22:
	ds_read_b32 v9, v15
.LBB24_23:
	s_or_b64 exec, exec, s[24:25]
	s_waitcnt lgkmcnt(0)
	v_add_u32_e32 v3, v9, v3
	ds_bpermute_b32 v3, v14, v3
	s_mov_b32 s24, 0
	s_mov_b32 s25, s24
	;; [unrolled: 1-line block ×4, first 2 shown]
	s_waitcnt lgkmcnt(0)
	v_cndmask_b32_e64 v3, v3, v9, s[0:1]
	v_cndmask_b32_e64 v10, v3, 0, s[2:3]
	v_add_u32_e32 v11, v10, v0
	v_add_u32_e32 v0, v11, v1
	;; [unrolled: 1-line block ×3, first 2 shown]
	ds_write2_b64 v12, v[10:11], v[0:1] offset0:1 offset1:2
	s_waitcnt lgkmcnt(0)
	s_barrier
	ds_read_b32 v0, v7 offset:8
	v_lshlrev_b32_e32 v1, 2, v8
	s_waitcnt lgkmcnt(0)
	s_barrier
	v_lshl_add_u32 v0, v0, 2, v1
	ds_write_b32 v0, v19
	s_waitcnt lgkmcnt(0)
	s_barrier
	ds_read_b32 v8, v17
	v_pk_mov_b32 v[0:1], s[24:25], s[24:25] op_sel:[0,1]
	v_pk_mov_b32 v[2:3], s[26:27], s[26:27] op_sel:[0,1]
	s_waitcnt lgkmcnt(0)
	s_barrier
	ds_write2_b64 v12, v[0:1], v[2:3] offset0:1 offset1:2
	v_mov_b32_e32 v1, 1
	v_lshlrev_b32_sdwa v1, v1, v8 dst_sel:DWORD dst_unused:UNUSED_PAD src0_sel:DWORD src1_sel:BYTE_1
	v_add_lshl_u32 v9, v1, v18, 2
	v_bfe_u32 v1, v8, 8, 1
	v_lshrrev_b32_e32 v0, 8, v8
	v_add_co_u32_e32 v2, vcc, -1, v1
	v_addc_co_u32_e64 v3, s[24:25], 0, -1, vcc
	v_cmp_ne_u32_e32 vcc, 0, v1
	v_lshlrev_b32_e32 v7, 30, v0
	v_xor_b32_e32 v1, vcc_hi, v3
	v_not_b32_e32 v3, v7
	v_xor_b32_e32 v2, vcc_lo, v2
	v_cmp_gt_i64_e32 vcc, 0, v[6:7]
	v_ashrrev_i32_e32 v3, 31, v3
	v_and_b32_e32 v1, exec_hi, v1
	v_xor_b32_e32 v7, vcc_hi, v3
	v_and_b32_e32 v2, exec_lo, v2
	v_xor_b32_e32 v3, vcc_lo, v3
	v_and_b32_e32 v1, v1, v7
	v_lshlrev_b32_e32 v7, 29, v0
	v_and_b32_e32 v2, v2, v3
	v_not_b32_e32 v3, v7
	v_cmp_gt_i64_e32 vcc, 0, v[6:7]
	v_ashrrev_i32_e32 v3, 31, v3
	v_xor_b32_e32 v7, vcc_hi, v3
	v_xor_b32_e32 v3, vcc_lo, v3
	v_and_b32_e32 v1, v1, v7
	v_lshlrev_b32_e32 v7, 28, v0
	v_and_b32_e32 v2, v2, v3
	v_not_b32_e32 v3, v7
	v_cmp_gt_i64_e32 vcc, 0, v[6:7]
	v_ashrrev_i32_e32 v3, 31, v3
	v_xor_b32_e32 v7, vcc_hi, v3
	;; [unrolled: 8-line block ×5, first 2 shown]
	v_and_b32_e32 v1, v1, v7
	v_lshlrev_b32_e32 v7, 24, v0
	v_not_b32_e32 v0, v7
	v_xor_b32_e32 v3, vcc_lo, v3
	v_cmp_gt_i64_e32 vcc, 0, v[6:7]
	v_ashrrev_i32_e32 v0, 31, v0
	v_and_b32_e32 v2, v2, v3
	v_xor_b32_e32 v3, vcc_hi, v0
	v_xor_b32_e32 v0, vcc_lo, v0
	v_and_b32_e32 v0, v2, v0
	v_and_b32_e32 v1, v1, v3
	v_mbcnt_lo_u32_b32 v2, v0, 0
	v_mbcnt_hi_u32_b32 v7, v1, v2
	v_cmp_eq_u32_e32 vcc, 0, v7
	v_cmp_ne_u64_e64 s[24:25], 0, v[0:1]
	s_and_b64 s[26:27], s[24:25], vcc
	s_waitcnt lgkmcnt(0)
	s_barrier
	s_waitcnt lgkmcnt(0)
	; wave barrier
	s_and_saveexec_b64 s[24:25], s[26:27]
	s_cbranch_execz .LBB24_25
; %bb.24:
	v_bcnt_u32_b32 v0, v0, 0
	v_bcnt_u32_b32 v0, v1, v0
	ds_write_b32 v9, v0 offset:8
.LBB24_25:
	s_or_b64 exec, exec, s[24:25]
	; wave barrier
	s_waitcnt lgkmcnt(0)
	s_barrier
	ds_read2_b64 v[0:3], v12 offset0:1 offset1:2
	s_waitcnt lgkmcnt(0)
	v_add_u32_e32 v6, v1, v0
	v_add3_u32 v3, v6, v2, v3
	s_nop 1
	v_mov_b32_dpp v6, v3 row_shr:1 row_mask:0xf bank_mask:0xf
	v_cndmask_b32_e64 v6, v6, 0, s[22:23]
	v_add_u32_e32 v3, v6, v3
	s_nop 1
	v_mov_b32_dpp v6, v3 row_shr:2 row_mask:0xf bank_mask:0xf
	v_cndmask_b32_e64 v6, 0, v6, s[20:21]
	v_add_u32_e32 v3, v3, v6
	;; [unrolled: 4-line block ×4, first 2 shown]
	s_nop 1
	v_mov_b32_dpp v6, v3 row_bcast:15 row_mask:0xf bank_mask:0xf
	v_cndmask_b32_e64 v6, v6, 0, s[12:13]
	v_add_u32_e32 v3, v3, v6
	s_nop 1
	v_mov_b32_dpp v6, v3 row_bcast:31 row_mask:0xf bank_mask:0xf
	v_cndmask_b32_e64 v6, 0, v6, s[10:11]
	v_add_u32_e32 v3, v3, v6
	s_and_saveexec_b64 s[24:25], s[18:19]
	s_cbranch_execz .LBB24_27
; %bb.26:
	ds_write_b32 v16, v3
.LBB24_27:
	s_or_b64 exec, exec, s[24:25]
	s_waitcnt lgkmcnt(0)
	s_barrier
	s_and_saveexec_b64 s[24:25], s[6:7]
	s_cbranch_execz .LBB24_29
; %bb.28:
	ds_read_b32 v6, v13
	s_waitcnt lgkmcnt(0)
	s_nop 0
	v_mov_b32_dpp v10, v6 row_shr:1 row_mask:0xf bank_mask:0xf
	v_cndmask_b32_e64 v10, v10, 0, s[8:9]
	v_add_u32_e32 v6, v10, v6
	ds_write_b32 v13, v6
.LBB24_29:
	s_or_b64 exec, exec, s[24:25]
	v_mov_b32_e32 v6, 0
	v_mov_b32_e32 v10, 0
	s_waitcnt lgkmcnt(0)
	s_barrier
	s_and_saveexec_b64 s[24:25], s[4:5]
	s_cbranch_execz .LBB24_31
; %bb.30:
	ds_read_b32 v10, v15
.LBB24_31:
	s_or_b64 exec, exec, s[24:25]
	s_waitcnt lgkmcnt(0)
	v_add_u32_e32 v3, v10, v3
	ds_bpermute_b32 v3, v14, v3
	s_mov_b32 s24, 0
	s_mov_b32 s25, s24
	;; [unrolled: 1-line block ×4, first 2 shown]
	s_waitcnt lgkmcnt(0)
	v_cndmask_b32_e64 v3, v3, v10, s[0:1]
	v_cndmask_b32_e64 v10, v3, 0, s[2:3]
	v_add_u32_e32 v11, v10, v0
	v_add_u32_e32 v0, v11, v1
	;; [unrolled: 1-line block ×3, first 2 shown]
	ds_write2_b64 v12, v[10:11], v[0:1] offset0:1 offset1:2
	s_waitcnt lgkmcnt(0)
	s_barrier
	ds_read_b32 v0, v9 offset:8
	v_lshlrev_b32_e32 v1, 2, v7
	s_waitcnt lgkmcnt(0)
	s_barrier
	v_lshl_add_u32 v0, v0, 2, v1
	ds_write_b32 v0, v8
	s_waitcnt lgkmcnt(0)
	s_barrier
	ds_read_b32 v8, v17
	v_pk_mov_b32 v[0:1], s[24:25], s[24:25] op_sel:[0,1]
	v_pk_mov_b32 v[2:3], s[26:27], s[26:27] op_sel:[0,1]
	s_waitcnt lgkmcnt(0)
	s_barrier
	ds_write2_b64 v12, v[0:1], v[2:3] offset0:1 offset1:2
	v_mov_b32_e32 v0, 1
	v_lshlrev_b32_sdwa v0, v0, v8 dst_sel:DWORD dst_unused:UNUSED_PAD src0_sel:DWORD src1_sel:BYTE_2
	v_add_lshl_u32 v9, v0, v18, 2
	v_bfe_u32 v0, v8, 16, 1
	v_add_co_u32_e32 v1, vcc, -1, v0
	v_addc_co_u32_e64 v2, s[24:25], 0, -1, vcc
	v_cmp_ne_u32_e32 vcc, 0, v0
	v_xor_b32_e32 v0, vcc_hi, v2
	v_mov_b32_e32 v2, 30
	v_lshlrev_b32_sdwa v7, v2, v8 dst_sel:DWORD dst_unused:UNUSED_PAD src0_sel:DWORD src1_sel:WORD_1
	v_not_b32_e32 v2, v7
	v_xor_b32_e32 v1, vcc_lo, v1
	v_cmp_gt_i64_e32 vcc, 0, v[6:7]
	v_ashrrev_i32_e32 v2, 31, v2
	v_and_b32_e32 v1, exec_lo, v1
	v_xor_b32_e32 v3, vcc_hi, v2
	v_xor_b32_e32 v2, vcc_lo, v2
	v_and_b32_e32 v1, v1, v2
	v_mov_b32_e32 v2, 29
	v_lshlrev_b32_sdwa v7, v2, v8 dst_sel:DWORD dst_unused:UNUSED_PAD src0_sel:DWORD src1_sel:WORD_1
	v_not_b32_e32 v2, v7
	v_and_b32_e32 v0, exec_hi, v0
	v_cmp_gt_i64_e32 vcc, 0, v[6:7]
	v_ashrrev_i32_e32 v2, 31, v2
	v_and_b32_e32 v0, v0, v3
	v_xor_b32_e32 v3, vcc_hi, v2
	v_xor_b32_e32 v2, vcc_lo, v2
	v_and_b32_e32 v1, v1, v2
	v_mov_b32_e32 v2, 28
	v_lshlrev_b32_sdwa v7, v2, v8 dst_sel:DWORD dst_unused:UNUSED_PAD src0_sel:DWORD src1_sel:WORD_1
	v_not_b32_e32 v2, v7
	v_cmp_gt_i64_e32 vcc, 0, v[6:7]
	v_ashrrev_i32_e32 v2, 31, v2
	v_and_b32_e32 v0, v0, v3
	v_xor_b32_e32 v3, vcc_hi, v2
	v_xor_b32_e32 v2, vcc_lo, v2
	v_and_b32_e32 v1, v1, v2
	v_mov_b32_e32 v2, 27
	v_lshlrev_b32_sdwa v7, v2, v8 dst_sel:DWORD dst_unused:UNUSED_PAD src0_sel:DWORD src1_sel:WORD_1
	v_not_b32_e32 v2, v7
	;; [unrolled: 9-line block ×5, first 2 shown]
	v_cmp_gt_i64_e32 vcc, 0, v[6:7]
	v_ashrrev_i32_e32 v1, 31, v1
	v_and_b32_e32 v0, v0, v3
	v_xor_b32_e32 v3, vcc_hi, v1
	v_xor_b32_e32 v6, vcc_lo, v1
	v_and_b32_e32 v1, v0, v3
	v_and_b32_e32 v0, v2, v6
	v_mbcnt_lo_u32_b32 v2, v0, 0
	v_mbcnt_hi_u32_b32 v7, v1, v2
	v_cmp_eq_u32_e32 vcc, 0, v7
	v_cmp_ne_u64_e64 s[24:25], 0, v[0:1]
	s_and_b64 s[26:27], s[24:25], vcc
	s_waitcnt lgkmcnt(0)
	s_barrier
	s_waitcnt lgkmcnt(0)
	; wave barrier
	s_and_saveexec_b64 s[24:25], s[26:27]
	s_cbranch_execz .LBB24_33
; %bb.32:
	v_bcnt_u32_b32 v0, v0, 0
	v_bcnt_u32_b32 v0, v1, v0
	ds_write_b32 v9, v0 offset:8
.LBB24_33:
	s_or_b64 exec, exec, s[24:25]
	; wave barrier
	s_waitcnt lgkmcnt(0)
	s_barrier
	ds_read2_b64 v[0:3], v12 offset0:1 offset1:2
	s_waitcnt lgkmcnt(0)
	v_add_u32_e32 v6, v1, v0
	v_add3_u32 v3, v6, v2, v3
	s_nop 1
	v_mov_b32_dpp v6, v3 row_shr:1 row_mask:0xf bank_mask:0xf
	v_cndmask_b32_e64 v6, v6, 0, s[22:23]
	v_add_u32_e32 v3, v6, v3
	s_nop 1
	v_mov_b32_dpp v6, v3 row_shr:2 row_mask:0xf bank_mask:0xf
	v_cndmask_b32_e64 v6, 0, v6, s[20:21]
	v_add_u32_e32 v3, v3, v6
	s_nop 1
	v_mov_b32_dpp v6, v3 row_shr:4 row_mask:0xf bank_mask:0xf
	v_cndmask_b32_e64 v6, 0, v6, s[16:17]
	v_add_u32_e32 v3, v3, v6
	s_nop 1
	v_mov_b32_dpp v6, v3 row_shr:8 row_mask:0xf bank_mask:0xf
	v_cndmask_b32_e64 v6, 0, v6, s[14:15]
	v_add_u32_e32 v3, v3, v6
	s_nop 1
	v_mov_b32_dpp v6, v3 row_bcast:15 row_mask:0xf bank_mask:0xf
	v_cndmask_b32_e64 v6, v6, 0, s[12:13]
	v_add_u32_e32 v3, v3, v6
	s_nop 1
	v_mov_b32_dpp v6, v3 row_bcast:31 row_mask:0xf bank_mask:0xf
	v_cndmask_b32_e64 v6, 0, v6, s[10:11]
	v_add_u32_e32 v3, v3, v6
	s_and_saveexec_b64 s[24:25], s[18:19]
	s_cbranch_execz .LBB24_35
; %bb.34:
	ds_write_b32 v16, v3
.LBB24_35:
	s_or_b64 exec, exec, s[24:25]
	s_waitcnt lgkmcnt(0)
	s_barrier
	s_and_saveexec_b64 s[24:25], s[6:7]
	s_cbranch_execz .LBB24_37
; %bb.36:
	ds_read_b32 v6, v13
	s_waitcnt lgkmcnt(0)
	s_nop 0
	v_mov_b32_dpp v10, v6 row_shr:1 row_mask:0xf bank_mask:0xf
	v_cndmask_b32_e64 v10, v10, 0, s[8:9]
	v_add_u32_e32 v6, v10, v6
	ds_write_b32 v13, v6
.LBB24_37:
	s_or_b64 exec, exec, s[24:25]
	v_mov_b32_e32 v6, 0
	v_mov_b32_e32 v10, 0
	s_waitcnt lgkmcnt(0)
	s_barrier
	s_and_saveexec_b64 s[24:25], s[4:5]
	s_cbranch_execz .LBB24_39
; %bb.38:
	ds_read_b32 v10, v15
.LBB24_39:
	s_or_b64 exec, exec, s[24:25]
	s_waitcnt lgkmcnt(0)
	v_add_u32_e32 v3, v10, v3
	ds_bpermute_b32 v3, v14, v3
	s_mov_b32 s24, 0
	s_mov_b32 s25, s24
	s_mov_b32 s26, s24
	s_mov_b32 s27, s24
	s_waitcnt lgkmcnt(0)
	v_cndmask_b32_e64 v3, v3, v10, s[0:1]
	v_cndmask_b32_e64 v10, v3, 0, s[2:3]
	v_add_u32_e32 v11, v10, v0
	v_add_u32_e32 v0, v11, v1
	;; [unrolled: 1-line block ×3, first 2 shown]
	ds_write2_b64 v12, v[10:11], v[0:1] offset0:1 offset1:2
	s_waitcnt lgkmcnt(0)
	s_barrier
	ds_read_b32 v0, v9 offset:8
	v_lshlrev_b32_e32 v1, 2, v7
	s_waitcnt lgkmcnt(0)
	s_barrier
	v_lshl_add_u32 v0, v0, 2, v1
	ds_write_b32 v0, v8
	s_waitcnt lgkmcnt(0)
	s_barrier
	ds_read_b32 v8, v17
	v_pk_mov_b32 v[0:1], s[24:25], s[24:25] op_sel:[0,1]
	v_pk_mov_b32 v[2:3], s[26:27], s[26:27] op_sel:[0,1]
	s_waitcnt lgkmcnt(0)
	s_barrier
	ds_write2_b64 v12, v[0:1], v[2:3] offset0:1 offset1:2
	v_mov_b32_e32 v0, 1
	v_lshlrev_b32_sdwa v0, v0, v8 dst_sel:DWORD dst_unused:UNUSED_PAD src0_sel:DWORD src1_sel:BYTE_3
	v_add_lshl_u32 v9, v0, v18, 2
	v_bfe_u32 v0, v8, 24, 1
	v_add_co_u32_e32 v1, vcc, -1, v0
	v_addc_co_u32_e64 v2, s[24:25], 0, -1, vcc
	v_cmp_ne_u32_e32 vcc, 0, v0
	v_xor_b32_e32 v0, vcc_hi, v2
	v_mov_b32_e32 v2, 30
	v_lshlrev_b32_sdwa v7, v2, v8 dst_sel:DWORD dst_unused:UNUSED_PAD src0_sel:DWORD src1_sel:BYTE_3
	v_not_b32_e32 v2, v7
	v_xor_b32_e32 v1, vcc_lo, v1
	v_cmp_gt_i64_e32 vcc, 0, v[6:7]
	v_ashrrev_i32_e32 v2, 31, v2
	v_and_b32_e32 v1, exec_lo, v1
	v_xor_b32_e32 v3, vcc_hi, v2
	v_xor_b32_e32 v2, vcc_lo, v2
	v_and_b32_e32 v1, v1, v2
	v_mov_b32_e32 v2, 29
	v_lshlrev_b32_sdwa v7, v2, v8 dst_sel:DWORD dst_unused:UNUSED_PAD src0_sel:DWORD src1_sel:BYTE_3
	v_not_b32_e32 v2, v7
	v_and_b32_e32 v0, exec_hi, v0
	v_cmp_gt_i64_e32 vcc, 0, v[6:7]
	v_ashrrev_i32_e32 v2, 31, v2
	v_and_b32_e32 v0, v0, v3
	v_xor_b32_e32 v3, vcc_hi, v2
	v_xor_b32_e32 v2, vcc_lo, v2
	v_and_b32_e32 v1, v1, v2
	v_mov_b32_e32 v2, 28
	v_lshlrev_b32_sdwa v7, v2, v8 dst_sel:DWORD dst_unused:UNUSED_PAD src0_sel:DWORD src1_sel:BYTE_3
	v_not_b32_e32 v2, v7
	v_cmp_gt_i64_e32 vcc, 0, v[6:7]
	v_ashrrev_i32_e32 v2, 31, v2
	v_and_b32_e32 v0, v0, v3
	v_xor_b32_e32 v3, vcc_hi, v2
	v_xor_b32_e32 v2, vcc_lo, v2
	v_and_b32_e32 v1, v1, v2
	v_mov_b32_e32 v2, 27
	v_lshlrev_b32_sdwa v7, v2, v8 dst_sel:DWORD dst_unused:UNUSED_PAD src0_sel:DWORD src1_sel:BYTE_3
	v_not_b32_e32 v2, v7
	;; [unrolled: 9-line block ×4, first 2 shown]
	v_cmp_gt_i64_e32 vcc, 0, v[6:7]
	v_ashrrev_i32_e32 v2, 31, v2
	v_and_b32_e32 v0, v0, v3
	v_xor_b32_e32 v3, vcc_hi, v2
	v_xor_b32_e32 v2, vcc_lo, v2
	v_and_b32_e32 v7, 0xff000000, v8
	v_and_b32_e32 v2, v1, v2
	v_not_b32_e32 v1, v7
	v_cmp_gt_i64_e32 vcc, 0, v[6:7]
	v_ashrrev_i32_e32 v1, 31, v1
	v_and_b32_e32 v0, v0, v3
	v_xor_b32_e32 v3, vcc_hi, v1
	v_xor_b32_e32 v6, vcc_lo, v1
	v_and_b32_e32 v1, v0, v3
	v_and_b32_e32 v0, v2, v6
	v_mbcnt_lo_u32_b32 v2, v0, 0
	v_mbcnt_hi_u32_b32 v6, v1, v2
	v_cmp_eq_u32_e32 vcc, 0, v6
	v_cmp_ne_u64_e64 s[24:25], 0, v[0:1]
	s_and_b64 s[26:27], s[24:25], vcc
	s_waitcnt lgkmcnt(0)
	s_barrier
	s_waitcnt lgkmcnt(0)
	; wave barrier
	s_and_saveexec_b64 s[24:25], s[26:27]
	s_cbranch_execz .LBB24_41
; %bb.40:
	v_bcnt_u32_b32 v0, v0, 0
	v_bcnt_u32_b32 v0, v1, v0
	ds_write_b32 v9, v0 offset:8
.LBB24_41:
	s_or_b64 exec, exec, s[24:25]
	; wave barrier
	s_waitcnt lgkmcnt(0)
	s_barrier
	ds_read2_b64 v[0:3], v12 offset0:1 offset1:2
	s_waitcnt lgkmcnt(0)
	v_add_u32_e32 v7, v1, v0
	v_add3_u32 v3, v7, v2, v3
	s_nop 1
	v_mov_b32_dpp v7, v3 row_shr:1 row_mask:0xf bank_mask:0xf
	v_cndmask_b32_e64 v7, v7, 0, s[22:23]
	v_add_u32_e32 v3, v7, v3
	s_nop 1
	v_mov_b32_dpp v7, v3 row_shr:2 row_mask:0xf bank_mask:0xf
	v_cndmask_b32_e64 v7, 0, v7, s[20:21]
	v_add_u32_e32 v3, v3, v7
	;; [unrolled: 4-line block ×4, first 2 shown]
	s_nop 1
	v_mov_b32_dpp v7, v3 row_bcast:15 row_mask:0xf bank_mask:0xf
	v_cndmask_b32_e64 v7, v7, 0, s[12:13]
	v_add_u32_e32 v3, v3, v7
	s_nop 1
	v_mov_b32_dpp v7, v3 row_bcast:31 row_mask:0xf bank_mask:0xf
	v_cndmask_b32_e64 v7, 0, v7, s[10:11]
	v_add_u32_e32 v3, v3, v7
	s_and_saveexec_b64 s[10:11], s[18:19]
	s_cbranch_execz .LBB24_43
; %bb.42:
	ds_write_b32 v16, v3
.LBB24_43:
	s_or_b64 exec, exec, s[10:11]
	s_waitcnt lgkmcnt(0)
	s_barrier
	s_and_saveexec_b64 s[10:11], s[6:7]
	s_cbranch_execz .LBB24_45
; %bb.44:
	ds_read_b32 v7, v13
	s_waitcnt lgkmcnt(0)
	s_nop 0
	v_mov_b32_dpp v10, v7 row_shr:1 row_mask:0xf bank_mask:0xf
	v_cndmask_b32_e64 v10, v10, 0, s[8:9]
	v_add_u32_e32 v7, v10, v7
	ds_write_b32 v13, v7
.LBB24_45:
	s_or_b64 exec, exec, s[10:11]
	v_mov_b32_e32 v7, 0
	s_waitcnt lgkmcnt(0)
	s_barrier
	s_and_saveexec_b64 s[6:7], s[4:5]
	s_cbranch_execz .LBB24_47
; %bb.46:
	ds_read_b32 v7, v15
.LBB24_47:
	s_or_b64 exec, exec, s[6:7]
	s_waitcnt lgkmcnt(0)
	v_add_u32_e32 v3, v7, v3
	ds_bpermute_b32 v3, v14, v3
	s_waitcnt lgkmcnt(0)
	v_cndmask_b32_e64 v3, v3, v7, s[0:1]
	v_cndmask_b32_e64 v10, v3, 0, s[2:3]
	v_add_u32_e32 v11, v10, v0
	v_add_u32_e32 v0, v11, v1
	;; [unrolled: 1-line block ×3, first 2 shown]
	ds_write2_b64 v12, v[10:11], v[0:1] offset0:1 offset1:2
	s_waitcnt lgkmcnt(0)
	s_barrier
	ds_read_b32 v0, v9 offset:8
	v_lshlrev_b32_e32 v1, 2, v6
	s_waitcnt lgkmcnt(0)
	s_barrier
	v_lshl_add_u32 v0, v0, 2, v1
	ds_write_b32 v0, v8
	s_waitcnt lgkmcnt(0)
	s_barrier
.LBB24_48:
	ds_read_b32 v0, v13
	s_waitcnt lgkmcnt(0)
	v_xor_b32_e32 v0, 0x80000000, v0
	global_store_dword v[4:5], v0, off
	s_endpgm
	.section	.rodata,"a",@progbits
	.p2align	6, 0x0
	.amdhsa_kernel _Z15sort_key_kernelILj128ELj1ELb0ELb0EiEvPT3_jj
		.amdhsa_group_segment_fixed_size 2064
		.amdhsa_private_segment_fixed_size 0
		.amdhsa_kernarg_size 272
		.amdhsa_user_sgpr_count 6
		.amdhsa_user_sgpr_private_segment_buffer 1
		.amdhsa_user_sgpr_dispatch_ptr 0
		.amdhsa_user_sgpr_queue_ptr 0
		.amdhsa_user_sgpr_kernarg_segment_ptr 1
		.amdhsa_user_sgpr_dispatch_id 0
		.amdhsa_user_sgpr_flat_scratch_init 0
		.amdhsa_user_sgpr_kernarg_preload_length 0
		.amdhsa_user_sgpr_kernarg_preload_offset 0
		.amdhsa_user_sgpr_private_segment_size 0
		.amdhsa_uses_dynamic_stack 0
		.amdhsa_system_sgpr_private_segment_wavefront_offset 0
		.amdhsa_system_sgpr_workgroup_id_x 1
		.amdhsa_system_sgpr_workgroup_id_y 0
		.amdhsa_system_sgpr_workgroup_id_z 0
		.amdhsa_system_sgpr_workgroup_info 0
		.amdhsa_system_vgpr_workitem_id 2
		.amdhsa_next_free_vgpr 26
		.amdhsa_next_free_sgpr 36
		.amdhsa_accum_offset 28
		.amdhsa_reserve_vcc 1
		.amdhsa_reserve_flat_scratch 0
		.amdhsa_float_round_mode_32 0
		.amdhsa_float_round_mode_16_64 0
		.amdhsa_float_denorm_mode_32 3
		.amdhsa_float_denorm_mode_16_64 3
		.amdhsa_dx10_clamp 1
		.amdhsa_ieee_mode 1
		.amdhsa_fp16_overflow 0
		.amdhsa_tg_split 0
		.amdhsa_exception_fp_ieee_invalid_op 0
		.amdhsa_exception_fp_denorm_src 0
		.amdhsa_exception_fp_ieee_div_zero 0
		.amdhsa_exception_fp_ieee_overflow 0
		.amdhsa_exception_fp_ieee_underflow 0
		.amdhsa_exception_fp_ieee_inexact 0
		.amdhsa_exception_int_div_zero 0
	.end_amdhsa_kernel
	.section	.text._Z15sort_key_kernelILj128ELj1ELb0ELb0EiEvPT3_jj,"axG",@progbits,_Z15sort_key_kernelILj128ELj1ELb0ELb0EiEvPT3_jj,comdat
.Lfunc_end24:
	.size	_Z15sort_key_kernelILj128ELj1ELb0ELb0EiEvPT3_jj, .Lfunc_end24-_Z15sort_key_kernelILj128ELj1ELb0ELb0EiEvPT3_jj
                                        ; -- End function
	.section	.AMDGPU.csdata,"",@progbits
; Kernel info:
; codeLenInByte = 4664
; NumSgprs: 40
; NumVgprs: 26
; NumAgprs: 0
; TotalNumVgprs: 26
; ScratchSize: 0
; MemoryBound: 0
; FloatMode: 240
; IeeeMode: 1
; LDSByteSize: 2064 bytes/workgroup (compile time only)
; SGPRBlocks: 4
; VGPRBlocks: 3
; NumSGPRsForWavesPerEU: 40
; NumVGPRsForWavesPerEU: 26
; AccumOffset: 28
; Occupancy: 8
; WaveLimiterHint : 0
; COMPUTE_PGM_RSRC2:SCRATCH_EN: 0
; COMPUTE_PGM_RSRC2:USER_SGPR: 6
; COMPUTE_PGM_RSRC2:TRAP_HANDLER: 0
; COMPUTE_PGM_RSRC2:TGID_X_EN: 1
; COMPUTE_PGM_RSRC2:TGID_Y_EN: 0
; COMPUTE_PGM_RSRC2:TGID_Z_EN: 0
; COMPUTE_PGM_RSRC2:TIDIG_COMP_CNT: 2
; COMPUTE_PGM_RSRC3_GFX90A:ACCUM_OFFSET: 6
; COMPUTE_PGM_RSRC3_GFX90A:TG_SPLIT: 0
	.section	.text._Z15sort_key_kernelILj64ELj1ELb0ELb0EjEvPT3_jj,"axG",@progbits,_Z15sort_key_kernelILj64ELj1ELb0ELb0EjEvPT3_jj,comdat
	.protected	_Z15sort_key_kernelILj64ELj1ELb0ELb0EjEvPT3_jj ; -- Begin function _Z15sort_key_kernelILj64ELj1ELb0ELb0EjEvPT3_jj
	.globl	_Z15sort_key_kernelILj64ELj1ELb0ELb0EjEvPT3_jj
	.p2align	8
	.type	_Z15sort_key_kernelILj64ELj1ELb0ELb0EjEvPT3_jj,@function
_Z15sort_key_kernelILj64ELj1ELb0ELb0EjEvPT3_jj: ; @_Z15sort_key_kernelILj64ELj1ELb0ELb0EjEvPT3_jj
; %bb.0:
	s_load_dwordx4 s[16:19], s[4:5], 0x0
	s_load_dword s7, s[4:5], 0x1c
	s_lshl_b32 s0, s6, 6
	s_mov_b32 s1, 0
	s_lshl_b64 s[0:1], s[0:1], 2
	v_and_b32_e32 v4, 0x3ff, v0
	s_waitcnt lgkmcnt(0)
	s_add_u32 s0, s16, s0
	s_addc_u32 s1, s17, s1
	v_lshlrev_b32_e32 v8, 2, v4
	global_load_dword v14, v8, s[0:1]
	s_cmp_eq_u32 s18, 0
	v_mov_b32_e32 v1, s1
	v_add_co_u32_e32 v2, vcc, s0, v8
	s_cselect_b64 s[0:1], -1, 0
	s_cmp_eq_u32 s19, 32
	s_cselect_b64 s[2:3], -1, 0
	v_addc_co_u32_e32 v3, vcc, 0, v1, vcc
	s_and_b64 s[20:21], s[0:1], s[2:3]
	s_lshr_b32 s0, s7, 16
	v_bfe_u32 v1, v0, 10, 10
	v_bfe_u32 v0, v0, 20, 10
	s_and_b32 s1, s7, 0xffff
	v_mad_u32_u24 v0, v0, s0, v1
	v_mad_u64_u32 v[0:1], s[0:1], v0, s1, v[4:5]
	v_lshrrev_b32_e32 v12, 6, v0
	v_mbcnt_lo_u32_b32 v0, -1, 0
	v_mbcnt_hi_u32_b32 v0, -1, v0
	v_and_b32_e32 v1, 15, v0
	v_cmp_eq_u32_e64 s[12:13], 0, v1
	v_cmp_lt_u32_e64 s[10:11], 1, v1
	v_cmp_lt_u32_e64 s[8:9], 3, v1
	;; [unrolled: 1-line block ×3, first 2 shown]
	v_and_b32_e32 v1, 16, v0
	v_cmp_eq_u32_e64 s[4:5], 0, v1
	v_add_u32_e32 v1, -1, v0
	v_and_b32_e32 v5, 64, v0
	v_cmp_lt_i32_e32 vcc, v1, v5
	v_lshlrev_b32_e32 v10, 4, v4
	v_cndmask_b32_e32 v1, v1, v0, vcc
	v_cmp_eq_u32_e32 vcc, 0, v0
	v_cmp_eq_u32_e64 s[14:15], 0, v4
	v_or_b32_e32 v9, 4, v10
	v_cmp_lt_u32_e64 s[2:3], 31, v0
	v_cmp_eq_u32_e64 s[0:1], 63, v4
	v_lshlrev_b32_e32 v11, 2, v1
	s_or_b64 s[16:17], s[14:15], vcc
	v_lshlrev_b32_e32 v13, 2, v0
	s_mov_b64 s[14:15], -1
	s_and_b64 vcc, exec, s[20:21]
	s_cbranch_vccz .LBB25_3
; %bb.1:
	s_and_b64 vcc, exec, s[14:15]
	s_cbranch_vccnz .LBB25_12
.LBB25_2:
	s_waitcnt lgkmcnt(0)
	ds_read_b32 v0, v8
	s_waitcnt lgkmcnt(0)
	global_store_dword v[2:3], v0, off
	s_endpgm
.LBB25_3:
	s_sub_i32 s20, s19, s18
	v_mov_b32_e32 v0, 0
	s_waitcnt vmcnt(0)
	v_mov_b32_e32 v4, v14
	s_branch .LBB25_5
.LBB25_4:                               ;   in Loop: Header=BB25_5 Depth=1
	; wave barrier
	ds_write_b32 v1, v15
	s_waitcnt lgkmcnt(0)
	; wave barrier
	s_waitcnt lgkmcnt(0)
	ds_read_b32 v4, v13
	s_add_i32 s20, s20, -8
	s_waitcnt lgkmcnt(0)
	; wave barrier
	s_waitcnt lgkmcnt(0)
	s_cbranch_execz .LBB25_11
.LBB25_5:                               ; =>This Inner Loop Header: Depth=1
	v_mov_b32_e32 v15, v4
	s_min_u32 s14, s20, 8
	v_lshrrev_b32_e32 v1, s18, v15
	v_bfe_u32 v4, v1, 0, s14
	v_add_u32_e32 v1, v4, v12
	v_lshl_add_u32 v16, v1, 2, 4
	v_and_b32_e32 v1, 1, v4
	v_add_co_u32_e32 v5, vcc, -1, v1
	v_addc_co_u32_e64 v6, s[14:15], 0, -1, vcc
	v_cmp_ne_u32_e32 vcc, 0, v1
	v_xor_b32_e32 v1, vcc_hi, v6
	v_and_b32_e32 v6, exec_hi, v1
	v_lshlrev_b32_e32 v1, 30, v4
	v_xor_b32_e32 v5, vcc_lo, v5
	v_cmp_gt_i64_e32 vcc, 0, v[0:1]
	v_not_b32_e32 v1, v1
	v_ashrrev_i32_e32 v1, 31, v1
	v_and_b32_e32 v5, exec_lo, v5
	v_xor_b32_e32 v7, vcc_hi, v1
	v_xor_b32_e32 v1, vcc_lo, v1
	v_and_b32_e32 v5, v5, v1
	v_lshlrev_b32_e32 v1, 29, v4
	v_cmp_gt_i64_e32 vcc, 0, v[0:1]
	v_not_b32_e32 v1, v1
	v_ashrrev_i32_e32 v1, 31, v1
	v_and_b32_e32 v6, v6, v7
	v_xor_b32_e32 v7, vcc_hi, v1
	v_xor_b32_e32 v1, vcc_lo, v1
	v_and_b32_e32 v5, v5, v1
	v_lshlrev_b32_e32 v1, 28, v4
	v_cmp_gt_i64_e32 vcc, 0, v[0:1]
	v_not_b32_e32 v1, v1
	v_ashrrev_i32_e32 v1, 31, v1
	v_and_b32_e32 v6, v6, v7
	v_xor_b32_e32 v7, vcc_hi, v1
	v_xor_b32_e32 v1, vcc_lo, v1
	v_and_b32_e32 v5, v5, v1
	v_lshlrev_b32_e32 v1, 27, v4
	v_cmp_gt_i64_e32 vcc, 0, v[0:1]
	v_not_b32_e32 v1, v1
	v_ashrrev_i32_e32 v1, 31, v1
	v_and_b32_e32 v6, v6, v7
	v_xor_b32_e32 v7, vcc_hi, v1
	v_xor_b32_e32 v1, vcc_lo, v1
	v_and_b32_e32 v5, v5, v1
	v_lshlrev_b32_e32 v1, 26, v4
	v_cmp_gt_i64_e32 vcc, 0, v[0:1]
	v_not_b32_e32 v1, v1
	v_ashrrev_i32_e32 v1, 31, v1
	v_and_b32_e32 v6, v6, v7
	v_xor_b32_e32 v7, vcc_hi, v1
	v_xor_b32_e32 v1, vcc_lo, v1
	v_and_b32_e32 v5, v5, v1
	v_lshlrev_b32_e32 v1, 25, v4
	v_cmp_gt_i64_e32 vcc, 0, v[0:1]
	v_not_b32_e32 v1, v1
	v_ashrrev_i32_e32 v1, 31, v1
	v_and_b32_e32 v6, v6, v7
	v_xor_b32_e32 v7, vcc_hi, v1
	v_xor_b32_e32 v1, vcc_lo, v1
	v_and_b32_e32 v6, v6, v7
	v_and_b32_e32 v7, v5, v1
	v_lshlrev_b32_e32 v1, 24, v4
	v_cmp_gt_i64_e32 vcc, 0, v[0:1]
	v_not_b32_e32 v1, v1
	v_ashrrev_i32_e32 v1, 31, v1
	v_xor_b32_e32 v4, vcc_hi, v1
	v_xor_b32_e32 v1, vcc_lo, v1
	v_and_b32_e32 v5, v6, v4
	v_and_b32_e32 v4, v7, v1
	v_mbcnt_lo_u32_b32 v1, v4, 0
	v_mbcnt_hi_u32_b32 v1, v5, v1
	v_cmp_eq_u32_e32 vcc, 0, v1
	v_cmp_ne_u64_e64 s[14:15], 0, v[4:5]
	s_and_b64 s[22:23], s[14:15], vcc
	ds_write2_b32 v10, v0, v0 offset0:1 offset1:2
	ds_write2_b32 v9, v0, v0 offset0:2 offset1:3
	s_waitcnt lgkmcnt(0)
	; wave barrier
	s_waitcnt lgkmcnt(0)
	; wave barrier
	s_and_saveexec_b64 s[14:15], s[22:23]
	s_cbranch_execz .LBB25_7
; %bb.6:                                ;   in Loop: Header=BB25_5 Depth=1
	v_bcnt_u32_b32 v4, v4, 0
	v_bcnt_u32_b32 v4, v5, v4
	ds_write_b32 v16, v4
.LBB25_7:                               ;   in Loop: Header=BB25_5 Depth=1
	s_or_b64 exec, exec, s[14:15]
	; wave barrier
	s_waitcnt lgkmcnt(0)
	; wave barrier
	s_waitcnt lgkmcnt(0)
	ds_read2_b32 v[6:7], v10 offset0:1 offset1:2
	ds_read2_b32 v[4:5], v9 offset0:2 offset1:3
	s_waitcnt lgkmcnt(1)
	v_add_u32_e32 v17, v7, v6
	s_waitcnt lgkmcnt(0)
	v_add3_u32 v5, v17, v4, v5
	s_nop 1
	v_mov_b32_dpp v17, v5 row_shr:1 row_mask:0xf bank_mask:0xf
	v_cndmask_b32_e64 v17, v17, 0, s[12:13]
	v_add_u32_e32 v5, v17, v5
	s_nop 1
	v_mov_b32_dpp v17, v5 row_shr:2 row_mask:0xf bank_mask:0xf
	v_cndmask_b32_e64 v17, 0, v17, s[10:11]
	v_add_u32_e32 v5, v5, v17
	;; [unrolled: 4-line block ×4, first 2 shown]
	s_nop 1
	v_mov_b32_dpp v17, v5 row_bcast:15 row_mask:0xf bank_mask:0xf
	v_cndmask_b32_e64 v17, v17, 0, s[4:5]
	v_add_u32_e32 v5, v5, v17
	s_nop 1
	v_mov_b32_dpp v17, v5 row_bcast:31 row_mask:0xf bank_mask:0xf
	v_cndmask_b32_e64 v17, 0, v17, s[2:3]
	v_add_u32_e32 v5, v5, v17
	s_and_saveexec_b64 s[14:15], s[0:1]
	s_cbranch_execz .LBB25_9
; %bb.8:                                ;   in Loop: Header=BB25_5 Depth=1
	ds_write_b32 v0, v5
.LBB25_9:                               ;   in Loop: Header=BB25_5 Depth=1
	s_or_b64 exec, exec, s[14:15]
	ds_bpermute_b32 v5, v11, v5
	s_waitcnt lgkmcnt(0)
	; wave barrier
	s_waitcnt lgkmcnt(0)
	s_add_i32 s18, s18, 8
	v_lshlrev_b32_e32 v1, 2, v1
	v_cndmask_b32_e64 v5, v5, 0, s[16:17]
	v_add_u32_e32 v6, v5, v6
	v_add_u32_e32 v7, v6, v7
	;; [unrolled: 1-line block ×3, first 2 shown]
	ds_write2_b32 v10, v5, v6 offset0:1 offset1:2
	ds_write2_b32 v9, v7, v4 offset0:2 offset1:3
	s_waitcnt lgkmcnt(0)
	; wave barrier
	s_waitcnt lgkmcnt(0)
	ds_read_b32 v4, v16
	s_cmp_ge_u32 s18, s19
	s_waitcnt lgkmcnt(0)
	v_lshl_add_u32 v1, v4, 2, v1
	s_cbranch_scc0 .LBB25_4
; %bb.10:
                                        ; implicit-def: $vgpr4
                                        ; implicit-def: $sgpr20
.LBB25_11:
	; wave barrier
	ds_write_b32 v1, v15
	s_waitcnt lgkmcnt(0)
	; wave barrier
	s_branch .LBB25_2
.LBB25_12:
	s_waitcnt vmcnt(0)
	v_and_b32_e32 v1, 0xff, v14
	v_add_lshl_u32 v6, v12, v1, 2
	v_and_b32_e32 v1, 1, v14
	v_add_co_u32_e32 v4, vcc, -1, v1
	v_addc_co_u32_e64 v5, s[14:15], 0, -1, vcc
	v_cmp_ne_u32_e32 vcc, 0, v1
	v_xor_b32_e32 v1, vcc_hi, v5
	v_mov_b32_e32 v0, 0
	v_and_b32_e32 v5, exec_hi, v1
	v_lshlrev_b32_e32 v1, 30, v14
	v_xor_b32_e32 v4, vcc_lo, v4
	v_cmp_gt_i64_e32 vcc, 0, v[0:1]
	v_not_b32_e32 v1, v1
	v_ashrrev_i32_e32 v1, 31, v1
	v_and_b32_e32 v4, exec_lo, v4
	v_xor_b32_e32 v7, vcc_hi, v1
	v_xor_b32_e32 v1, vcc_lo, v1
	v_and_b32_e32 v4, v4, v1
	v_lshlrev_b32_e32 v1, 29, v14
	v_cmp_gt_i64_e32 vcc, 0, v[0:1]
	v_not_b32_e32 v1, v1
	v_ashrrev_i32_e32 v1, 31, v1
	v_and_b32_e32 v5, v5, v7
	v_xor_b32_e32 v7, vcc_hi, v1
	v_xor_b32_e32 v1, vcc_lo, v1
	v_and_b32_e32 v4, v4, v1
	v_lshlrev_b32_e32 v1, 28, v14
	v_cmp_gt_i64_e32 vcc, 0, v[0:1]
	v_not_b32_e32 v1, v1
	v_ashrrev_i32_e32 v1, 31, v1
	v_and_b32_e32 v5, v5, v7
	;; [unrolled: 8-line block ×5, first 2 shown]
	v_xor_b32_e32 v7, vcc_hi, v1
	v_xor_b32_e32 v1, vcc_lo, v1
	v_and_b32_e32 v4, v4, v1
	v_lshlrev_b32_e32 v1, 24, v14
	ds_write2_b32 v10, v0, v0 offset0:1 offset1:2
	ds_write2_b32 v9, v0, v0 offset0:2 offset1:3
	v_cmp_gt_i64_e32 vcc, 0, v[0:1]
	v_not_b32_e32 v0, v1
	v_ashrrev_i32_e32 v0, 31, v0
	v_xor_b32_e32 v1, vcc_hi, v0
	v_xor_b32_e32 v0, vcc_lo, v0
	v_and_b32_e32 v5, v5, v7
	v_and_b32_e32 v0, v4, v0
	;; [unrolled: 1-line block ×3, first 2 shown]
	v_mbcnt_lo_u32_b32 v4, v0, 0
	v_mbcnt_hi_u32_b32 v7, v1, v4
	v_cmp_eq_u32_e32 vcc, 0, v7
	v_cmp_ne_u64_e64 s[14:15], 0, v[0:1]
	s_and_b64 s[18:19], s[14:15], vcc
	s_waitcnt lgkmcnt(0)
	; wave barrier
	s_waitcnt lgkmcnt(0)
	; wave barrier
	s_and_saveexec_b64 s[14:15], s[18:19]
	s_cbranch_execz .LBB25_14
; %bb.13:
	v_bcnt_u32_b32 v0, v0, 0
	v_bcnt_u32_b32 v0, v1, v0
	ds_write_b32 v6, v0 offset:4
.LBB25_14:
	s_or_b64 exec, exec, s[14:15]
	; wave barrier
	s_waitcnt lgkmcnt(0)
	; wave barrier
	s_waitcnt lgkmcnt(0)
	ds_read2_b32 v[4:5], v10 offset0:1 offset1:2
	ds_read2_b32 v[0:1], v9 offset0:2 offset1:3
	s_waitcnt lgkmcnt(1)
	v_add_u32_e32 v15, v5, v4
	s_waitcnt lgkmcnt(0)
	v_add3_u32 v1, v15, v0, v1
	s_nop 1
	v_mov_b32_dpp v15, v1 row_shr:1 row_mask:0xf bank_mask:0xf
	v_cndmask_b32_e64 v15, v15, 0, s[12:13]
	v_add_u32_e32 v1, v15, v1
	s_nop 1
	v_mov_b32_dpp v15, v1 row_shr:2 row_mask:0xf bank_mask:0xf
	v_cndmask_b32_e64 v15, 0, v15, s[10:11]
	v_add_u32_e32 v1, v1, v15
	s_nop 1
	v_mov_b32_dpp v15, v1 row_shr:4 row_mask:0xf bank_mask:0xf
	v_cndmask_b32_e64 v15, 0, v15, s[8:9]
	v_add_u32_e32 v1, v1, v15
	s_nop 1
	v_mov_b32_dpp v15, v1 row_shr:8 row_mask:0xf bank_mask:0xf
	v_cndmask_b32_e64 v15, 0, v15, s[6:7]
	v_add_u32_e32 v1, v1, v15
	s_nop 1
	v_mov_b32_dpp v15, v1 row_bcast:15 row_mask:0xf bank_mask:0xf
	v_cndmask_b32_e64 v15, v15, 0, s[4:5]
	v_add_u32_e32 v1, v1, v15
	s_nop 1
	v_mov_b32_dpp v15, v1 row_bcast:31 row_mask:0xf bank_mask:0xf
	v_cndmask_b32_e64 v15, 0, v15, s[2:3]
	v_add_u32_e32 v1, v1, v15
	s_and_saveexec_b64 s[14:15], s[0:1]
	s_cbranch_execz .LBB25_16
; %bb.15:
	v_mov_b32_e32 v15, 0
	ds_write_b32 v15, v1
.LBB25_16:
	s_or_b64 exec, exec, s[14:15]
	ds_bpermute_b32 v1, v11, v1
	s_waitcnt lgkmcnt(0)
	; wave barrier
	s_waitcnt lgkmcnt(0)
	v_cndmask_b32_e64 v1, v1, 0, s[16:17]
	v_add_u32_e32 v4, v1, v4
	v_add_u32_e32 v5, v4, v5
	;; [unrolled: 1-line block ×3, first 2 shown]
	ds_write2_b32 v10, v1, v4 offset0:1 offset1:2
	ds_write2_b32 v9, v5, v0 offset0:2 offset1:3
	s_waitcnt lgkmcnt(0)
	; wave barrier
	s_waitcnt lgkmcnt(0)
	ds_read_b32 v1, v6 offset:4
	v_lshlrev_b32_e32 v4, 2, v7
	s_waitcnt lgkmcnt(0)
	; wave barrier
	s_waitcnt lgkmcnt(0)
	v_mov_b32_e32 v0, 0
	v_lshl_add_u32 v1, v1, 2, v4
	ds_write_b32 v1, v14
	s_waitcnt lgkmcnt(0)
	; wave barrier
	s_waitcnt lgkmcnt(0)
	ds_read_b32 v6, v13
	s_waitcnt lgkmcnt(0)
	; wave barrier
	s_waitcnt lgkmcnt(0)
	ds_write2_b32 v10, v0, v0 offset0:1 offset1:2
	ds_write2_b32 v9, v0, v0 offset0:2 offset1:3
	s_waitcnt lgkmcnt(0)
	v_bfe_u32 v1, v6, 8, 8
	v_add_lshl_u32 v7, v1, v12, 2
	v_bfe_u32 v1, v6, 8, 1
	v_add_co_u32_e32 v5, vcc, -1, v1
	v_addc_co_u32_e64 v14, s[14:15], 0, -1, vcc
	v_cmp_ne_u32_e32 vcc, 0, v1
	v_lshrrev_b32_e32 v4, 8, v6
	v_xor_b32_e32 v1, vcc_hi, v14
	v_and_b32_e32 v14, exec_hi, v1
	v_lshlrev_b32_e32 v1, 30, v4
	v_xor_b32_e32 v5, vcc_lo, v5
	v_cmp_gt_i64_e32 vcc, 0, v[0:1]
	v_not_b32_e32 v1, v1
	v_ashrrev_i32_e32 v1, 31, v1
	v_and_b32_e32 v5, exec_lo, v5
	v_xor_b32_e32 v15, vcc_hi, v1
	v_xor_b32_e32 v1, vcc_lo, v1
	v_and_b32_e32 v5, v5, v1
	v_lshlrev_b32_e32 v1, 29, v4
	v_cmp_gt_i64_e32 vcc, 0, v[0:1]
	v_not_b32_e32 v1, v1
	v_ashrrev_i32_e32 v1, 31, v1
	v_and_b32_e32 v14, v14, v15
	v_xor_b32_e32 v15, vcc_hi, v1
	v_xor_b32_e32 v1, vcc_lo, v1
	v_and_b32_e32 v5, v5, v1
	v_lshlrev_b32_e32 v1, 28, v4
	v_cmp_gt_i64_e32 vcc, 0, v[0:1]
	v_not_b32_e32 v1, v1
	v_ashrrev_i32_e32 v1, 31, v1
	v_and_b32_e32 v14, v14, v15
	;; [unrolled: 8-line block ×5, first 2 shown]
	v_xor_b32_e32 v15, vcc_hi, v1
	v_xor_b32_e32 v1, vcc_lo, v1
	v_and_b32_e32 v5, v5, v1
	v_lshlrev_b32_e32 v1, 24, v4
	v_cmp_gt_i64_e32 vcc, 0, v[0:1]
	v_not_b32_e32 v0, v1
	v_ashrrev_i32_e32 v0, 31, v0
	v_xor_b32_e32 v1, vcc_hi, v0
	v_xor_b32_e32 v0, vcc_lo, v0
	v_and_b32_e32 v14, v14, v15
	v_and_b32_e32 v0, v5, v0
	;; [unrolled: 1-line block ×3, first 2 shown]
	v_mbcnt_lo_u32_b32 v4, v0, 0
	v_mbcnt_hi_u32_b32 v14, v1, v4
	v_cmp_eq_u32_e32 vcc, 0, v14
	v_cmp_ne_u64_e64 s[14:15], 0, v[0:1]
	s_and_b64 s[18:19], s[14:15], vcc
	; wave barrier
	s_waitcnt lgkmcnt(0)
	; wave barrier
	s_and_saveexec_b64 s[14:15], s[18:19]
	s_cbranch_execz .LBB25_18
; %bb.17:
	v_bcnt_u32_b32 v0, v0, 0
	v_bcnt_u32_b32 v0, v1, v0
	ds_write_b32 v7, v0 offset:4
.LBB25_18:
	s_or_b64 exec, exec, s[14:15]
	; wave barrier
	s_waitcnt lgkmcnt(0)
	; wave barrier
	s_waitcnt lgkmcnt(0)
	ds_read2_b32 v[4:5], v10 offset0:1 offset1:2
	ds_read2_b32 v[0:1], v9 offset0:2 offset1:3
	s_waitcnt lgkmcnt(1)
	v_add_u32_e32 v15, v5, v4
	s_waitcnt lgkmcnt(0)
	v_add3_u32 v1, v15, v0, v1
	s_nop 1
	v_mov_b32_dpp v15, v1 row_shr:1 row_mask:0xf bank_mask:0xf
	v_cndmask_b32_e64 v15, v15, 0, s[12:13]
	v_add_u32_e32 v1, v15, v1
	s_nop 1
	v_mov_b32_dpp v15, v1 row_shr:2 row_mask:0xf bank_mask:0xf
	v_cndmask_b32_e64 v15, 0, v15, s[10:11]
	v_add_u32_e32 v1, v1, v15
	;; [unrolled: 4-line block ×4, first 2 shown]
	s_nop 1
	v_mov_b32_dpp v15, v1 row_bcast:15 row_mask:0xf bank_mask:0xf
	v_cndmask_b32_e64 v15, v15, 0, s[4:5]
	v_add_u32_e32 v1, v1, v15
	s_nop 1
	v_mov_b32_dpp v15, v1 row_bcast:31 row_mask:0xf bank_mask:0xf
	v_cndmask_b32_e64 v15, 0, v15, s[2:3]
	v_add_u32_e32 v1, v1, v15
	s_and_saveexec_b64 s[14:15], s[0:1]
	s_cbranch_execz .LBB25_20
; %bb.19:
	v_mov_b32_e32 v15, 0
	ds_write_b32 v15, v1
.LBB25_20:
	s_or_b64 exec, exec, s[14:15]
	ds_bpermute_b32 v1, v11, v1
	s_waitcnt lgkmcnt(0)
	; wave barrier
	s_waitcnt lgkmcnt(0)
	v_cndmask_b32_e64 v1, v1, 0, s[16:17]
	v_add_u32_e32 v4, v1, v4
	v_add_u32_e32 v5, v4, v5
	;; [unrolled: 1-line block ×3, first 2 shown]
	ds_write2_b32 v10, v1, v4 offset0:1 offset1:2
	ds_write2_b32 v9, v5, v0 offset0:2 offset1:3
	s_waitcnt lgkmcnt(0)
	; wave barrier
	s_waitcnt lgkmcnt(0)
	ds_read_b32 v1, v7 offset:4
	v_lshlrev_b32_e32 v4, 2, v14
	s_waitcnt lgkmcnt(0)
	; wave barrier
	s_waitcnt lgkmcnt(0)
	v_mov_b32_e32 v0, 0
	v_lshl_add_u32 v1, v1, 2, v4
	ds_write_b32 v1, v6
	s_waitcnt lgkmcnt(0)
	; wave barrier
	s_waitcnt lgkmcnt(0)
	ds_read_b32 v6, v13
	s_waitcnt lgkmcnt(0)
	; wave barrier
	s_waitcnt lgkmcnt(0)
	ds_write2_b32 v10, v0, v0 offset0:1 offset1:2
	ds_write2_b32 v9, v0, v0 offset0:2 offset1:3
	s_waitcnt lgkmcnt(0)
	v_bfe_u32 v1, v6, 16, 8
	v_add_lshl_u32 v7, v1, v12, 2
	v_bfe_u32 v1, v6, 16, 1
	v_add_co_u32_e32 v4, vcc, -1, v1
	v_addc_co_u32_e64 v5, s[14:15], 0, -1, vcc
	v_cmp_ne_u32_e32 vcc, 0, v1
	v_xor_b32_e32 v1, vcc_hi, v5
	v_and_b32_e32 v5, exec_hi, v1
	v_mov_b32_e32 v1, 30
	v_lshlrev_b32_sdwa v1, v1, v6 dst_sel:DWORD dst_unused:UNUSED_PAD src0_sel:DWORD src1_sel:WORD_1
	v_xor_b32_e32 v4, vcc_lo, v4
	v_cmp_gt_i64_e32 vcc, 0, v[0:1]
	v_not_b32_e32 v1, v1
	v_ashrrev_i32_e32 v1, 31, v1
	v_and_b32_e32 v4, exec_lo, v4
	v_xor_b32_e32 v14, vcc_hi, v1
	v_xor_b32_e32 v1, vcc_lo, v1
	v_and_b32_e32 v4, v4, v1
	v_mov_b32_e32 v1, 29
	v_lshlrev_b32_sdwa v1, v1, v6 dst_sel:DWORD dst_unused:UNUSED_PAD src0_sel:DWORD src1_sel:WORD_1
	v_cmp_gt_i64_e32 vcc, 0, v[0:1]
	v_not_b32_e32 v1, v1
	v_ashrrev_i32_e32 v1, 31, v1
	v_and_b32_e32 v5, v5, v14
	v_xor_b32_e32 v14, vcc_hi, v1
	v_xor_b32_e32 v1, vcc_lo, v1
	v_and_b32_e32 v4, v4, v1
	v_mov_b32_e32 v1, 28
	v_lshlrev_b32_sdwa v1, v1, v6 dst_sel:DWORD dst_unused:UNUSED_PAD src0_sel:DWORD src1_sel:WORD_1
	v_cmp_gt_i64_e32 vcc, 0, v[0:1]
	v_not_b32_e32 v1, v1
	v_ashrrev_i32_e32 v1, 31, v1
	v_and_b32_e32 v5, v5, v14
	;; [unrolled: 9-line block ×5, first 2 shown]
	v_xor_b32_e32 v14, vcc_hi, v1
	v_xor_b32_e32 v1, vcc_lo, v1
	v_and_b32_e32 v4, v4, v1
	v_mov_b32_e32 v1, 24
	v_lshlrev_b32_sdwa v1, v1, v6 dst_sel:DWORD dst_unused:UNUSED_PAD src0_sel:DWORD src1_sel:WORD_1
	v_cmp_gt_i64_e32 vcc, 0, v[0:1]
	v_not_b32_e32 v0, v1
	v_ashrrev_i32_e32 v0, 31, v0
	v_xor_b32_e32 v1, vcc_hi, v0
	v_xor_b32_e32 v0, vcc_lo, v0
	v_and_b32_e32 v5, v5, v14
	v_and_b32_e32 v0, v4, v0
	;; [unrolled: 1-line block ×3, first 2 shown]
	v_mbcnt_lo_u32_b32 v4, v0, 0
	v_mbcnt_hi_u32_b32 v14, v1, v4
	v_cmp_eq_u32_e32 vcc, 0, v14
	v_cmp_ne_u64_e64 s[14:15], 0, v[0:1]
	s_and_b64 s[18:19], s[14:15], vcc
	; wave barrier
	s_waitcnt lgkmcnt(0)
	; wave barrier
	s_and_saveexec_b64 s[14:15], s[18:19]
	s_cbranch_execz .LBB25_22
; %bb.21:
	v_bcnt_u32_b32 v0, v0, 0
	v_bcnt_u32_b32 v0, v1, v0
	ds_write_b32 v7, v0 offset:4
.LBB25_22:
	s_or_b64 exec, exec, s[14:15]
	; wave barrier
	s_waitcnt lgkmcnt(0)
	; wave barrier
	s_waitcnt lgkmcnt(0)
	ds_read2_b32 v[4:5], v10 offset0:1 offset1:2
	ds_read2_b32 v[0:1], v9 offset0:2 offset1:3
	s_waitcnt lgkmcnt(1)
	v_add_u32_e32 v15, v5, v4
	s_waitcnt lgkmcnt(0)
	v_add3_u32 v1, v15, v0, v1
	s_nop 1
	v_mov_b32_dpp v15, v1 row_shr:1 row_mask:0xf bank_mask:0xf
	v_cndmask_b32_e64 v15, v15, 0, s[12:13]
	v_add_u32_e32 v1, v15, v1
	s_nop 1
	v_mov_b32_dpp v15, v1 row_shr:2 row_mask:0xf bank_mask:0xf
	v_cndmask_b32_e64 v15, 0, v15, s[10:11]
	v_add_u32_e32 v1, v1, v15
	;; [unrolled: 4-line block ×4, first 2 shown]
	s_nop 1
	v_mov_b32_dpp v15, v1 row_bcast:15 row_mask:0xf bank_mask:0xf
	v_cndmask_b32_e64 v15, v15, 0, s[4:5]
	v_add_u32_e32 v1, v1, v15
	s_nop 1
	v_mov_b32_dpp v15, v1 row_bcast:31 row_mask:0xf bank_mask:0xf
	v_cndmask_b32_e64 v15, 0, v15, s[2:3]
	v_add_u32_e32 v1, v1, v15
	s_and_saveexec_b64 s[14:15], s[0:1]
	s_cbranch_execz .LBB25_24
; %bb.23:
	v_mov_b32_e32 v15, 0
	ds_write_b32 v15, v1
.LBB25_24:
	s_or_b64 exec, exec, s[14:15]
	ds_bpermute_b32 v1, v11, v1
	s_waitcnt lgkmcnt(0)
	; wave barrier
	s_waitcnt lgkmcnt(0)
	v_cndmask_b32_e64 v1, v1, 0, s[16:17]
	v_add_u32_e32 v4, v1, v4
	v_add_u32_e32 v5, v4, v5
	;; [unrolled: 1-line block ×3, first 2 shown]
	ds_write2_b32 v10, v1, v4 offset0:1 offset1:2
	ds_write2_b32 v9, v5, v0 offset0:2 offset1:3
	s_waitcnt lgkmcnt(0)
	; wave barrier
	s_waitcnt lgkmcnt(0)
	ds_read_b32 v1, v7 offset:4
	v_lshlrev_b32_e32 v4, 2, v14
	s_waitcnt lgkmcnt(0)
	; wave barrier
	s_waitcnt lgkmcnt(0)
	v_mov_b32_e32 v0, 0
	v_lshl_add_u32 v1, v1, 2, v4
	ds_write_b32 v1, v6
	s_waitcnt lgkmcnt(0)
	; wave barrier
	s_waitcnt lgkmcnt(0)
	ds_read_b32 v6, v13
	s_waitcnt lgkmcnt(0)
	; wave barrier
	s_waitcnt lgkmcnt(0)
	ds_write2_b32 v10, v0, v0 offset0:1 offset1:2
	ds_write2_b32 v9, v0, v0 offset0:2 offset1:3
	s_waitcnt lgkmcnt(0)
	v_bfe_u32 v1, v6, 24, 1
	v_lshrrev_b32_e32 v4, 24, v6
	v_add_co_u32_e32 v5, vcc, -1, v1
	v_add_lshl_u32 v7, v4, v12, 2
	v_addc_co_u32_e64 v12, s[14:15], 0, -1, vcc
	v_cmp_ne_u32_e32 vcc, 0, v1
	v_xor_b32_e32 v1, vcc_hi, v12
	v_and_b32_e32 v12, exec_hi, v1
	v_lshlrev_b32_e32 v1, 30, v4
	v_xor_b32_e32 v5, vcc_lo, v5
	v_cmp_gt_i64_e32 vcc, 0, v[0:1]
	v_not_b32_e32 v1, v1
	v_ashrrev_i32_e32 v1, 31, v1
	v_and_b32_e32 v5, exec_lo, v5
	v_xor_b32_e32 v13, vcc_hi, v1
	v_xor_b32_e32 v1, vcc_lo, v1
	v_and_b32_e32 v5, v5, v1
	v_lshlrev_b32_e32 v1, 29, v4
	v_cmp_gt_i64_e32 vcc, 0, v[0:1]
	v_not_b32_e32 v1, v1
	v_ashrrev_i32_e32 v1, 31, v1
	v_and_b32_e32 v12, v12, v13
	v_xor_b32_e32 v13, vcc_hi, v1
	v_xor_b32_e32 v1, vcc_lo, v1
	v_and_b32_e32 v5, v5, v1
	v_lshlrev_b32_e32 v1, 28, v4
	v_cmp_gt_i64_e32 vcc, 0, v[0:1]
	v_not_b32_e32 v1, v1
	v_ashrrev_i32_e32 v1, 31, v1
	v_and_b32_e32 v12, v12, v13
	;; [unrolled: 8-line block ×4, first 2 shown]
	v_xor_b32_e32 v13, vcc_hi, v1
	v_xor_b32_e32 v1, vcc_lo, v1
	v_and_b32_e32 v5, v5, v1
	v_lshlrev_b32_e32 v1, 25, v4
	v_cmp_gt_i64_e32 vcc, 0, v[0:1]
	v_not_b32_e32 v1, v1
	v_ashrrev_i32_e32 v1, 31, v1
	v_xor_b32_e32 v4, vcc_hi, v1
	v_xor_b32_e32 v1, vcc_lo, v1
	v_and_b32_e32 v5, v5, v1
	v_and_b32_e32 v1, 0xff000000, v6
	v_cmp_gt_i64_e32 vcc, 0, v[0:1]
	v_not_b32_e32 v0, v1
	v_ashrrev_i32_e32 v0, 31, v0
	v_and_b32_e32 v12, v12, v13
	v_xor_b32_e32 v1, vcc_hi, v0
	v_xor_b32_e32 v0, vcc_lo, v0
	v_and_b32_e32 v4, v12, v4
	v_and_b32_e32 v0, v5, v0
	;; [unrolled: 1-line block ×3, first 2 shown]
	v_mbcnt_lo_u32_b32 v4, v0, 0
	v_mbcnt_hi_u32_b32 v12, v1, v4
	v_cmp_eq_u32_e32 vcc, 0, v12
	v_cmp_ne_u64_e64 s[14:15], 0, v[0:1]
	s_and_b64 s[18:19], s[14:15], vcc
	; wave barrier
	s_waitcnt lgkmcnt(0)
	; wave barrier
	s_and_saveexec_b64 s[14:15], s[18:19]
	s_cbranch_execz .LBB25_26
; %bb.25:
	v_bcnt_u32_b32 v0, v0, 0
	v_bcnt_u32_b32 v0, v1, v0
	ds_write_b32 v7, v0 offset:4
.LBB25_26:
	s_or_b64 exec, exec, s[14:15]
	; wave barrier
	s_waitcnt lgkmcnt(0)
	; wave barrier
	s_waitcnt lgkmcnt(0)
	ds_read2_b32 v[4:5], v10 offset0:1 offset1:2
	ds_read2_b32 v[0:1], v9 offset0:2 offset1:3
	s_waitcnt lgkmcnt(1)
	v_add_u32_e32 v13, v5, v4
	s_waitcnt lgkmcnt(0)
	v_add3_u32 v1, v13, v0, v1
	s_nop 1
	v_mov_b32_dpp v13, v1 row_shr:1 row_mask:0xf bank_mask:0xf
	v_cndmask_b32_e64 v13, v13, 0, s[12:13]
	v_add_u32_e32 v1, v13, v1
	s_nop 1
	v_mov_b32_dpp v13, v1 row_shr:2 row_mask:0xf bank_mask:0xf
	v_cndmask_b32_e64 v13, 0, v13, s[10:11]
	v_add_u32_e32 v1, v1, v13
	;; [unrolled: 4-line block ×4, first 2 shown]
	s_nop 1
	v_mov_b32_dpp v13, v1 row_bcast:15 row_mask:0xf bank_mask:0xf
	v_cndmask_b32_e64 v13, v13, 0, s[4:5]
	v_add_u32_e32 v1, v1, v13
	s_nop 1
	v_mov_b32_dpp v13, v1 row_bcast:31 row_mask:0xf bank_mask:0xf
	v_cndmask_b32_e64 v13, 0, v13, s[2:3]
	v_add_u32_e32 v1, v1, v13
	s_and_saveexec_b64 s[2:3], s[0:1]
	s_cbranch_execz .LBB25_28
; %bb.27:
	v_mov_b32_e32 v13, 0
	ds_write_b32 v13, v1
.LBB25_28:
	s_or_b64 exec, exec, s[2:3]
	ds_bpermute_b32 v1, v11, v1
	s_waitcnt lgkmcnt(0)
	; wave barrier
	s_waitcnt lgkmcnt(0)
	v_cndmask_b32_e64 v1, v1, 0, s[16:17]
	v_add_u32_e32 v4, v1, v4
	v_add_u32_e32 v5, v4, v5
	;; [unrolled: 1-line block ×3, first 2 shown]
	ds_write2_b32 v10, v1, v4 offset0:1 offset1:2
	ds_write2_b32 v9, v5, v0 offset0:2 offset1:3
	s_waitcnt lgkmcnt(0)
	; wave barrier
	s_waitcnt lgkmcnt(0)
	ds_read_b32 v0, v7 offset:4
	v_lshlrev_b32_e32 v1, 2, v12
	s_waitcnt lgkmcnt(0)
	; wave barrier
	s_waitcnt lgkmcnt(0)
	v_lshl_add_u32 v0, v0, 2, v1
	ds_write_b32 v0, v6
	s_waitcnt lgkmcnt(0)
	; wave barrier
	s_waitcnt lgkmcnt(0)
	ds_read_b32 v0, v8
	s_waitcnt lgkmcnt(0)
	global_store_dword v[2:3], v0, off
	s_endpgm
	.section	.rodata,"a",@progbits
	.p2align	6, 0x0
	.amdhsa_kernel _Z15sort_key_kernelILj64ELj1ELb0ELb0EjEvPT3_jj
		.amdhsa_group_segment_fixed_size 1040
		.amdhsa_private_segment_fixed_size 0
		.amdhsa_kernarg_size 272
		.amdhsa_user_sgpr_count 6
		.amdhsa_user_sgpr_private_segment_buffer 1
		.amdhsa_user_sgpr_dispatch_ptr 0
		.amdhsa_user_sgpr_queue_ptr 0
		.amdhsa_user_sgpr_kernarg_segment_ptr 1
		.amdhsa_user_sgpr_dispatch_id 0
		.amdhsa_user_sgpr_flat_scratch_init 0
		.amdhsa_user_sgpr_kernarg_preload_length 0
		.amdhsa_user_sgpr_kernarg_preload_offset 0
		.amdhsa_user_sgpr_private_segment_size 0
		.amdhsa_uses_dynamic_stack 0
		.amdhsa_system_sgpr_private_segment_wavefront_offset 0
		.amdhsa_system_sgpr_workgroup_id_x 1
		.amdhsa_system_sgpr_workgroup_id_y 0
		.amdhsa_system_sgpr_workgroup_id_z 0
		.amdhsa_system_sgpr_workgroup_info 0
		.amdhsa_system_vgpr_workitem_id 2
		.amdhsa_next_free_vgpr 18
		.amdhsa_next_free_sgpr 24
		.amdhsa_accum_offset 20
		.amdhsa_reserve_vcc 1
		.amdhsa_reserve_flat_scratch 0
		.amdhsa_float_round_mode_32 0
		.amdhsa_float_round_mode_16_64 0
		.amdhsa_float_denorm_mode_32 3
		.amdhsa_float_denorm_mode_16_64 3
		.amdhsa_dx10_clamp 1
		.amdhsa_ieee_mode 1
		.amdhsa_fp16_overflow 0
		.amdhsa_tg_split 0
		.amdhsa_exception_fp_ieee_invalid_op 0
		.amdhsa_exception_fp_denorm_src 0
		.amdhsa_exception_fp_ieee_div_zero 0
		.amdhsa_exception_fp_ieee_overflow 0
		.amdhsa_exception_fp_ieee_underflow 0
		.amdhsa_exception_fp_ieee_inexact 0
		.amdhsa_exception_int_div_zero 0
	.end_amdhsa_kernel
	.section	.text._Z15sort_key_kernelILj64ELj1ELb0ELb0EjEvPT3_jj,"axG",@progbits,_Z15sort_key_kernelILj64ELj1ELb0ELb0EjEvPT3_jj,comdat
.Lfunc_end25:
	.size	_Z15sort_key_kernelILj64ELj1ELb0ELb0EjEvPT3_jj, .Lfunc_end25-_Z15sort_key_kernelILj64ELj1ELb0ELb0EjEvPT3_jj
                                        ; -- End function
	.section	.AMDGPU.csdata,"",@progbits
; Kernel info:
; codeLenInByte = 3980
; NumSgprs: 28
; NumVgprs: 18
; NumAgprs: 0
; TotalNumVgprs: 18
; ScratchSize: 0
; MemoryBound: 0
; FloatMode: 240
; IeeeMode: 1
; LDSByteSize: 1040 bytes/workgroup (compile time only)
; SGPRBlocks: 3
; VGPRBlocks: 2
; NumSGPRsForWavesPerEU: 28
; NumVGPRsForWavesPerEU: 18
; AccumOffset: 20
; Occupancy: 8
; WaveLimiterHint : 0
; COMPUTE_PGM_RSRC2:SCRATCH_EN: 0
; COMPUTE_PGM_RSRC2:USER_SGPR: 6
; COMPUTE_PGM_RSRC2:TRAP_HANDLER: 0
; COMPUTE_PGM_RSRC2:TGID_X_EN: 1
; COMPUTE_PGM_RSRC2:TGID_Y_EN: 0
; COMPUTE_PGM_RSRC2:TGID_Z_EN: 0
; COMPUTE_PGM_RSRC2:TIDIG_COMP_CNT: 2
; COMPUTE_PGM_RSRC3_GFX90A:ACCUM_OFFSET: 4
; COMPUTE_PGM_RSRC3_GFX90A:TG_SPLIT: 0
	.section	.text._Z15sort_key_kernelILj64ELj1ELb0ELb0EoEvPT3_jj,"axG",@progbits,_Z15sort_key_kernelILj64ELj1ELb0ELb0EoEvPT3_jj,comdat
	.protected	_Z15sort_key_kernelILj64ELj1ELb0ELb0EoEvPT3_jj ; -- Begin function _Z15sort_key_kernelILj64ELj1ELb0ELb0EoEvPT3_jj
	.globl	_Z15sort_key_kernelILj64ELj1ELb0ELb0EoEvPT3_jj
	.p2align	8
	.type	_Z15sort_key_kernelILj64ELj1ELb0ELb0EoEvPT3_jj,@function
_Z15sort_key_kernelILj64ELj1ELb0ELb0EoEvPT3_jj: ; @_Z15sort_key_kernelILj64ELj1ELb0ELb0EoEvPT3_jj
; %bb.0:
	s_load_dwordx4 s[16:19], s[4:5], 0x0
	s_load_dword s7, s[4:5], 0x1c
	s_lshl_b32 s0, s6, 6
	s_mov_b32 s1, 0
	s_lshl_b64 s[0:1], s[0:1], 4
	v_and_b32_e32 v6, 0x3ff, v0
	s_waitcnt lgkmcnt(0)
	s_add_u32 s0, s16, s0
	s_addc_u32 s1, s17, s1
	v_lshlrev_b32_e32 v16, 4, v6
	global_load_dwordx4 v[2:5], v16, s[0:1]
	s_cmp_eq_u32 s18, 0
	v_mov_b32_e32 v1, s1
	v_add_co_u32_e32 v14, vcc, s0, v16
	s_cselect_b64 s[0:1], -1, 0
	s_cmpk_eq_i32 s19, 0x80
	s_cselect_b64 s[2:3], -1, 0
	v_addc_co_u32_e32 v15, vcc, 0, v1, vcc
	s_and_b64 s[20:21], s[0:1], s[2:3]
	s_lshr_b32 s0, s7, 16
	v_bfe_u32 v1, v0, 10, 10
	v_bfe_u32 v0, v0, 20, 10
	s_and_b32 s1, s7, 0xffff
	v_mad_u32_u24 v0, v0, s0, v1
	v_mad_u64_u32 v[0:1], s[0:1], v0, s1, v[6:7]
	v_lshrrev_b32_e32 v18, 6, v0
	v_mbcnt_lo_u32_b32 v0, -1, 0
	v_mbcnt_hi_u32_b32 v0, -1, v0
	v_and_b32_e32 v1, 15, v0
	v_cmp_eq_u32_e64 s[0:1], 0, v1
	v_cmp_lt_u32_e64 s[2:3], 1, v1
	v_cmp_lt_u32_e64 s[4:5], 3, v1
	;; [unrolled: 1-line block ×3, first 2 shown]
	v_and_b32_e32 v1, 16, v0
	v_cmp_eq_u32_e64 s[8:9], 0, v1
	v_add_u32_e32 v1, -1, v0
	v_and_b32_e32 v7, 64, v0
	v_cmp_lt_i32_e32 vcc, v1, v7
	v_cndmask_b32_e32 v1, v1, v0, vcc
	v_cmp_eq_u32_e32 vcc, 0, v0
	v_cmp_eq_u32_e64 s[14:15], 0, v6
	v_or_b32_e32 v17, 4, v16
	v_cmp_lt_u32_e64 s[10:11], 31, v0
	v_cmp_eq_u32_e64 s[12:13], 63, v6
	v_lshlrev_b32_e32 v19, 2, v1
	s_or_b64 s[16:17], s[14:15], vcc
	v_lshlrev_b32_e32 v20, 4, v0
	s_mov_b64 s[14:15], -1
	s_and_b64 vcc, exec, s[20:21]
	s_cbranch_vccz .LBB26_3
; %bb.1:
	s_and_b64 vcc, exec, s[14:15]
	s_cbranch_vccnz .LBB26_12
.LBB26_2:
	s_waitcnt vmcnt(0) lgkmcnt(0)
	ds_read_b128 v[0:3], v16
	s_waitcnt lgkmcnt(0)
	global_store_dwordx4 v[14:15], v[0:3], off
	s_endpgm
.LBB26_3:
	s_sub_i32 s20, s19, s18
	v_mov_b32_e32 v0, 0
	s_waitcnt vmcnt(0)
	v_pk_mov_b32 v[10:11], v[2:3], v[2:3] op_sel:[0,1]
	v_pk_mov_b32 v[12:13], v[4:5], v[4:5] op_sel:[0,1]
	s_branch .LBB26_5
.LBB26_4:                               ;   in Loop: Header=BB26_5 Depth=1
	; wave barrier
	ds_write_b128 v1, v[6:9]
	s_waitcnt lgkmcnt(0)
	; wave barrier
	s_waitcnt lgkmcnt(0)
	ds_read_b128 v[10:13], v20
	s_add_i32 s20, s20, -8
	s_waitcnt lgkmcnt(0)
	; wave barrier
	s_waitcnt lgkmcnt(0)
	s_cbranch_execz .LBB26_11
.LBB26_5:                               ; =>This Inner Loop Header: Depth=1
	v_pk_mov_b32 v[8:9], v[12:13], v[12:13] op_sel:[0,1]
	s_sub_i32 s15, 64, s18
	v_pk_mov_b32 v[6:7], v[10:11], v[10:11] op_sel:[0,1]
	s_min_u32 s14, s20, 8
	v_lshlrev_b64 v[12:13], s15, v[8:9]
	s_sub_i32 s15, s18, 64
	v_lshrrev_b64 v[10:11], s18, v[6:7]
	s_cmp_lt_u32 s18, 64
	v_or_b32_e32 v1, v10, v12
	v_lshrrev_b64 v[10:11], s15, v[8:9]
	s_cselect_b64 vcc, -1, 0
	s_cmp_eq_u32 s18, 0
	v_cndmask_b32_e32 v1, v10, v1, vcc
	s_cselect_b64 vcc, -1, 0
	v_cndmask_b32_e32 v1, v1, v6, vcc
	v_bfe_u32 v10, v1, 0, s14
	v_add_u32_e32 v1, v10, v18
	v_lshl_add_u32 v21, v1, 2, 4
	v_and_b32_e32 v1, 1, v10
	v_add_co_u32_e32 v11, vcc, -1, v1
	v_addc_co_u32_e64 v12, s[14:15], 0, -1, vcc
	v_cmp_ne_u32_e32 vcc, 0, v1
	v_xor_b32_e32 v1, vcc_hi, v12
	v_and_b32_e32 v12, exec_hi, v1
	v_lshlrev_b32_e32 v1, 30, v10
	v_xor_b32_e32 v11, vcc_lo, v11
	v_cmp_gt_i64_e32 vcc, 0, v[0:1]
	v_not_b32_e32 v1, v1
	v_ashrrev_i32_e32 v1, 31, v1
	v_and_b32_e32 v11, exec_lo, v11
	v_xor_b32_e32 v13, vcc_hi, v1
	v_xor_b32_e32 v1, vcc_lo, v1
	v_and_b32_e32 v11, v11, v1
	v_lshlrev_b32_e32 v1, 29, v10
	v_cmp_gt_i64_e32 vcc, 0, v[0:1]
	v_not_b32_e32 v1, v1
	v_ashrrev_i32_e32 v1, 31, v1
	v_and_b32_e32 v12, v12, v13
	v_xor_b32_e32 v13, vcc_hi, v1
	v_xor_b32_e32 v1, vcc_lo, v1
	v_and_b32_e32 v11, v11, v1
	v_lshlrev_b32_e32 v1, 28, v10
	v_cmp_gt_i64_e32 vcc, 0, v[0:1]
	v_not_b32_e32 v1, v1
	v_ashrrev_i32_e32 v1, 31, v1
	v_and_b32_e32 v12, v12, v13
	;; [unrolled: 8-line block ×5, first 2 shown]
	v_xor_b32_e32 v13, vcc_hi, v1
	v_xor_b32_e32 v1, vcc_lo, v1
	v_and_b32_e32 v12, v12, v13
	v_and_b32_e32 v13, v11, v1
	v_lshlrev_b32_e32 v1, 24, v10
	v_cmp_gt_i64_e32 vcc, 0, v[0:1]
	v_not_b32_e32 v1, v1
	v_ashrrev_i32_e32 v1, 31, v1
	v_xor_b32_e32 v10, vcc_hi, v1
	v_xor_b32_e32 v1, vcc_lo, v1
	v_and_b32_e32 v11, v12, v10
	v_and_b32_e32 v10, v13, v1
	v_mbcnt_lo_u32_b32 v1, v10, 0
	v_mbcnt_hi_u32_b32 v1, v11, v1
	v_cmp_eq_u32_e32 vcc, 0, v1
	v_cmp_ne_u64_e64 s[14:15], 0, v[10:11]
	s_and_b64 s[22:23], s[14:15], vcc
	ds_write2_b32 v16, v0, v0 offset0:1 offset1:2
	ds_write2_b32 v17, v0, v0 offset0:2 offset1:3
	s_waitcnt lgkmcnt(0)
	; wave barrier
	s_waitcnt lgkmcnt(0)
	; wave barrier
	s_and_saveexec_b64 s[14:15], s[22:23]
	s_cbranch_execz .LBB26_7
; %bb.6:                                ;   in Loop: Header=BB26_5 Depth=1
	v_bcnt_u32_b32 v10, v10, 0
	v_bcnt_u32_b32 v10, v11, v10
	ds_write_b32 v21, v10
.LBB26_7:                               ;   in Loop: Header=BB26_5 Depth=1
	s_or_b64 exec, exec, s[14:15]
	; wave barrier
	s_waitcnt lgkmcnt(0)
	; wave barrier
	s_waitcnt lgkmcnt(0)
	ds_read2_b32 v[12:13], v16 offset0:1 offset1:2
	ds_read2_b32 v[10:11], v17 offset0:2 offset1:3
	s_waitcnt lgkmcnt(1)
	v_add_u32_e32 v22, v13, v12
	s_waitcnt lgkmcnt(0)
	v_add3_u32 v11, v22, v10, v11
	s_nop 1
	v_mov_b32_dpp v22, v11 row_shr:1 row_mask:0xf bank_mask:0xf
	v_cndmask_b32_e64 v22, v22, 0, s[0:1]
	v_add_u32_e32 v11, v22, v11
	s_nop 1
	v_mov_b32_dpp v22, v11 row_shr:2 row_mask:0xf bank_mask:0xf
	v_cndmask_b32_e64 v22, 0, v22, s[2:3]
	v_add_u32_e32 v11, v11, v22
	s_nop 1
	v_mov_b32_dpp v22, v11 row_shr:4 row_mask:0xf bank_mask:0xf
	v_cndmask_b32_e64 v22, 0, v22, s[4:5]
	v_add_u32_e32 v11, v11, v22
	s_nop 1
	v_mov_b32_dpp v22, v11 row_shr:8 row_mask:0xf bank_mask:0xf
	v_cndmask_b32_e64 v22, 0, v22, s[6:7]
	v_add_u32_e32 v11, v11, v22
	s_nop 1
	v_mov_b32_dpp v22, v11 row_bcast:15 row_mask:0xf bank_mask:0xf
	v_cndmask_b32_e64 v22, v22, 0, s[8:9]
	v_add_u32_e32 v11, v11, v22
	s_nop 1
	v_mov_b32_dpp v22, v11 row_bcast:31 row_mask:0xf bank_mask:0xf
	v_cndmask_b32_e64 v22, 0, v22, s[10:11]
	v_add_u32_e32 v11, v11, v22
	s_and_saveexec_b64 s[14:15], s[12:13]
	s_cbranch_execz .LBB26_9
; %bb.8:                                ;   in Loop: Header=BB26_5 Depth=1
	ds_write_b32 v0, v11
.LBB26_9:                               ;   in Loop: Header=BB26_5 Depth=1
	s_or_b64 exec, exec, s[14:15]
	ds_bpermute_b32 v11, v19, v11
	s_waitcnt lgkmcnt(0)
	; wave barrier
	s_waitcnt lgkmcnt(0)
	s_add_i32 s18, s18, 8
	v_lshlrev_b32_e32 v1, 4, v1
	v_cndmask_b32_e64 v11, v11, 0, s[16:17]
	v_add_u32_e32 v12, v11, v12
	v_add_u32_e32 v13, v12, v13
	;; [unrolled: 1-line block ×3, first 2 shown]
	ds_write2_b32 v16, v11, v12 offset0:1 offset1:2
	ds_write2_b32 v17, v13, v10 offset0:2 offset1:3
	s_waitcnt lgkmcnt(0)
	; wave barrier
	s_waitcnt lgkmcnt(0)
	ds_read_b32 v10, v21
	s_cmp_ge_u32 s18, s19
	s_waitcnt lgkmcnt(0)
	v_lshl_add_u32 v1, v10, 4, v1
	s_cbranch_scc0 .LBB26_4
; %bb.10:
                                        ; implicit-def: $vgpr10_vgpr11
                                        ; implicit-def: $sgpr20
.LBB26_11:
	; wave barrier
	ds_write_b128 v1, v[6:9]
	s_waitcnt lgkmcnt(0)
	; wave barrier
	s_branch .LBB26_2
.LBB26_12:
	s_mov_b32 s18, 0
	v_mov_b32_e32 v0, 0
	s_branch .LBB26_14
.LBB26_13:                              ;   in Loop: Header=BB26_14 Depth=1
	v_lshlrev_b32_e32 v2, 4, v1
	s_waitcnt lgkmcnt(0)
	; wave barrier
	ds_write_b128 v2, v[6:9]
	s_waitcnt lgkmcnt(0)
	; wave barrier
	s_waitcnt lgkmcnt(0)
	ds_read_b128 v[2:5], v20
	s_add_i32 s18, s18, 8
	s_waitcnt lgkmcnt(0)
	; wave barrier
	s_waitcnt lgkmcnt(0)
	s_cbranch_execz .LBB26_20
.LBB26_14:                              ; =>This Inner Loop Header: Depth=1
	s_waitcnt vmcnt(0)
	v_pk_mov_b32 v[8:9], v[4:5], v[4:5] op_sel:[0,1]
	s_sub_i32 s14, 64, s18
	v_pk_mov_b32 v[6:7], v[2:3], v[2:3] op_sel:[0,1]
	v_lshlrev_b64 v[4:5], s14, v[8:9]
	s_sub_i32 s14, s18, 64
	v_lshrrev_b64 v[2:3], s18, v[6:7]
	s_cmp_lt_u32 s18, 64
	v_or_b32_e32 v1, v2, v4
	v_lshrrev_b64 v[2:3], s14, v[8:9]
	s_cselect_b64 vcc, -1, 0
	s_cmp_eq_u32 s18, 0
	v_cndmask_b32_e32 v1, v2, v1, vcc
	s_cselect_b64 vcc, -1, 0
	v_cndmask_b32_e32 v2, v1, v6, vcc
	v_add_u32_sdwa v1, v2, v18 dst_sel:DWORD dst_unused:UNUSED_PAD src0_sel:BYTE_0 src1_sel:DWORD
	v_lshl_add_u32 v10, v1, 2, 4
	v_and_b32_e32 v1, 1, v2
	v_add_co_u32_e32 v3, vcc, -1, v1
	v_addc_co_u32_e64 v4, s[14:15], 0, -1, vcc
	v_cmp_ne_u32_e32 vcc, 0, v1
	v_xor_b32_e32 v1, vcc_hi, v4
	v_and_b32_e32 v4, exec_hi, v1
	v_lshlrev_b32_e32 v1, 30, v2
	v_xor_b32_e32 v3, vcc_lo, v3
	v_cmp_gt_i64_e32 vcc, 0, v[0:1]
	v_not_b32_e32 v1, v1
	v_ashrrev_i32_e32 v1, 31, v1
	v_and_b32_e32 v3, exec_lo, v3
	v_xor_b32_e32 v5, vcc_hi, v1
	v_xor_b32_e32 v1, vcc_lo, v1
	v_and_b32_e32 v3, v3, v1
	v_lshlrev_b32_e32 v1, 29, v2
	v_cmp_gt_i64_e32 vcc, 0, v[0:1]
	v_not_b32_e32 v1, v1
	v_ashrrev_i32_e32 v1, 31, v1
	v_and_b32_e32 v4, v4, v5
	v_xor_b32_e32 v5, vcc_hi, v1
	v_xor_b32_e32 v1, vcc_lo, v1
	v_and_b32_e32 v3, v3, v1
	v_lshlrev_b32_e32 v1, 28, v2
	v_cmp_gt_i64_e32 vcc, 0, v[0:1]
	v_not_b32_e32 v1, v1
	v_ashrrev_i32_e32 v1, 31, v1
	v_and_b32_e32 v4, v4, v5
	;; [unrolled: 8-line block ×5, first 2 shown]
	v_xor_b32_e32 v5, vcc_hi, v1
	v_xor_b32_e32 v1, vcc_lo, v1
	v_and_b32_e32 v4, v4, v5
	v_and_b32_e32 v5, v3, v1
	v_lshlrev_b32_e32 v1, 24, v2
	v_cmp_gt_i64_e32 vcc, 0, v[0:1]
	v_not_b32_e32 v1, v1
	v_ashrrev_i32_e32 v1, 31, v1
	v_xor_b32_e32 v2, vcc_hi, v1
	v_xor_b32_e32 v1, vcc_lo, v1
	v_and_b32_e32 v3, v4, v2
	v_and_b32_e32 v2, v5, v1
	v_mbcnt_lo_u32_b32 v1, v2, 0
	v_mbcnt_hi_u32_b32 v1, v3, v1
	v_cmp_eq_u32_e32 vcc, 0, v1
	v_cmp_ne_u64_e64 s[14:15], 0, v[2:3]
	s_and_b64 s[20:21], s[14:15], vcc
	ds_write2_b32 v16, v0, v0 offset0:1 offset1:2
	ds_write2_b32 v17, v0, v0 offset0:2 offset1:3
	s_waitcnt lgkmcnt(0)
	; wave barrier
	s_waitcnt lgkmcnt(0)
	; wave barrier
	s_and_saveexec_b64 s[14:15], s[20:21]
	s_cbranch_execz .LBB26_16
; %bb.15:                               ;   in Loop: Header=BB26_14 Depth=1
	v_bcnt_u32_b32 v2, v2, 0
	v_bcnt_u32_b32 v2, v3, v2
	ds_write_b32 v10, v2
.LBB26_16:                              ;   in Loop: Header=BB26_14 Depth=1
	s_or_b64 exec, exec, s[14:15]
	; wave barrier
	s_waitcnt lgkmcnt(0)
	; wave barrier
	s_waitcnt lgkmcnt(0)
	ds_read2_b32 v[4:5], v16 offset0:1 offset1:2
	ds_read2_b32 v[2:3], v17 offset0:2 offset1:3
	s_waitcnt lgkmcnt(1)
	v_add_u32_e32 v11, v5, v4
	s_waitcnt lgkmcnt(0)
	v_add3_u32 v3, v11, v2, v3
	s_nop 1
	v_mov_b32_dpp v11, v3 row_shr:1 row_mask:0xf bank_mask:0xf
	v_cndmask_b32_e64 v11, v11, 0, s[0:1]
	v_add_u32_e32 v3, v11, v3
	s_nop 1
	v_mov_b32_dpp v11, v3 row_shr:2 row_mask:0xf bank_mask:0xf
	v_cndmask_b32_e64 v11, 0, v11, s[2:3]
	v_add_u32_e32 v3, v3, v11
	s_nop 1
	v_mov_b32_dpp v11, v3 row_shr:4 row_mask:0xf bank_mask:0xf
	v_cndmask_b32_e64 v11, 0, v11, s[4:5]
	v_add_u32_e32 v3, v3, v11
	s_nop 1
	v_mov_b32_dpp v11, v3 row_shr:8 row_mask:0xf bank_mask:0xf
	v_cndmask_b32_e64 v11, 0, v11, s[6:7]
	v_add_u32_e32 v3, v3, v11
	s_nop 1
	v_mov_b32_dpp v11, v3 row_bcast:15 row_mask:0xf bank_mask:0xf
	v_cndmask_b32_e64 v11, v11, 0, s[8:9]
	v_add_u32_e32 v3, v3, v11
	s_nop 1
	v_mov_b32_dpp v11, v3 row_bcast:31 row_mask:0xf bank_mask:0xf
	v_cndmask_b32_e64 v11, 0, v11, s[10:11]
	v_add_u32_e32 v3, v3, v11
	s_and_saveexec_b64 s[14:15], s[12:13]
	s_cbranch_execz .LBB26_18
; %bb.17:                               ;   in Loop: Header=BB26_14 Depth=1
	ds_write_b32 v0, v3
.LBB26_18:                              ;   in Loop: Header=BB26_14 Depth=1
	s_or_b64 exec, exec, s[14:15]
	ds_bpermute_b32 v3, v19, v3
	s_waitcnt lgkmcnt(0)
	; wave barrier
	s_waitcnt lgkmcnt(0)
	s_cmpk_gt_u32 s18, 0x77
	v_cndmask_b32_e64 v3, v3, 0, s[16:17]
	v_add_u32_e32 v4, v3, v4
	v_add_u32_e32 v5, v4, v5
	;; [unrolled: 1-line block ×3, first 2 shown]
	ds_write2_b32 v16, v3, v4 offset0:1 offset1:2
	ds_write2_b32 v17, v5, v2 offset0:2 offset1:3
	s_waitcnt lgkmcnt(0)
	; wave barrier
	s_waitcnt lgkmcnt(0)
	ds_read_b32 v2, v10
	s_waitcnt lgkmcnt(0)
	v_add_u32_e32 v1, v2, v1
	s_cbranch_scc0 .LBB26_13
; %bb.19:
                                        ; implicit-def: $sgpr18
                                        ; implicit-def: $vgpr2_vgpr3
.LBB26_20:
	v_lshlrev_b32_e32 v0, 4, v1
	s_waitcnt lgkmcnt(0)
	; wave barrier
	ds_write_b128 v0, v[6:9]
	s_waitcnt lgkmcnt(0)
	; wave barrier
	s_waitcnt lgkmcnt(0)
	ds_read_b128 v[0:3], v16
	s_waitcnt lgkmcnt(0)
	global_store_dwordx4 v[14:15], v[0:3], off
	s_endpgm
	.section	.rodata,"a",@progbits
	.p2align	6, 0x0
	.amdhsa_kernel _Z15sort_key_kernelILj64ELj1ELb0ELb0EoEvPT3_jj
		.amdhsa_group_segment_fixed_size 1040
		.amdhsa_private_segment_fixed_size 0
		.amdhsa_kernarg_size 272
		.amdhsa_user_sgpr_count 6
		.amdhsa_user_sgpr_private_segment_buffer 1
		.amdhsa_user_sgpr_dispatch_ptr 0
		.amdhsa_user_sgpr_queue_ptr 0
		.amdhsa_user_sgpr_kernarg_segment_ptr 1
		.amdhsa_user_sgpr_dispatch_id 0
		.amdhsa_user_sgpr_flat_scratch_init 0
		.amdhsa_user_sgpr_kernarg_preload_length 0
		.amdhsa_user_sgpr_kernarg_preload_offset 0
		.amdhsa_user_sgpr_private_segment_size 0
		.amdhsa_uses_dynamic_stack 0
		.amdhsa_system_sgpr_private_segment_wavefront_offset 0
		.amdhsa_system_sgpr_workgroup_id_x 1
		.amdhsa_system_sgpr_workgroup_id_y 0
		.amdhsa_system_sgpr_workgroup_id_z 0
		.amdhsa_system_sgpr_workgroup_info 0
		.amdhsa_system_vgpr_workitem_id 2
		.amdhsa_next_free_vgpr 23
		.amdhsa_next_free_sgpr 24
		.amdhsa_accum_offset 24
		.amdhsa_reserve_vcc 1
		.amdhsa_reserve_flat_scratch 0
		.amdhsa_float_round_mode_32 0
		.amdhsa_float_round_mode_16_64 0
		.amdhsa_float_denorm_mode_32 3
		.amdhsa_float_denorm_mode_16_64 3
		.amdhsa_dx10_clamp 1
		.amdhsa_ieee_mode 1
		.amdhsa_fp16_overflow 0
		.amdhsa_tg_split 0
		.amdhsa_exception_fp_ieee_invalid_op 0
		.amdhsa_exception_fp_denorm_src 0
		.amdhsa_exception_fp_ieee_div_zero 0
		.amdhsa_exception_fp_ieee_overflow 0
		.amdhsa_exception_fp_ieee_underflow 0
		.amdhsa_exception_fp_ieee_inexact 0
		.amdhsa_exception_int_div_zero 0
	.end_amdhsa_kernel
	.section	.text._Z15sort_key_kernelILj64ELj1ELb0ELb0EoEvPT3_jj,"axG",@progbits,_Z15sort_key_kernelILj64ELj1ELb0ELb0EoEvPT3_jj,comdat
.Lfunc_end26:
	.size	_Z15sort_key_kernelILj64ELj1ELb0ELb0EoEvPT3_jj, .Lfunc_end26-_Z15sort_key_kernelILj64ELj1ELb0ELb0EoEvPT3_jj
                                        ; -- End function
	.section	.AMDGPU.csdata,"",@progbits
; Kernel info:
; codeLenInByte = 2004
; NumSgprs: 28
; NumVgprs: 23
; NumAgprs: 0
; TotalNumVgprs: 23
; ScratchSize: 0
; MemoryBound: 0
; FloatMode: 240
; IeeeMode: 1
; LDSByteSize: 1040 bytes/workgroup (compile time only)
; SGPRBlocks: 3
; VGPRBlocks: 2
; NumSGPRsForWavesPerEU: 28
; NumVGPRsForWavesPerEU: 23
; AccumOffset: 24
; Occupancy: 8
; WaveLimiterHint : 0
; COMPUTE_PGM_RSRC2:SCRATCH_EN: 0
; COMPUTE_PGM_RSRC2:USER_SGPR: 6
; COMPUTE_PGM_RSRC2:TRAP_HANDLER: 0
; COMPUTE_PGM_RSRC2:TGID_X_EN: 1
; COMPUTE_PGM_RSRC2:TGID_Y_EN: 0
; COMPUTE_PGM_RSRC2:TGID_Z_EN: 0
; COMPUTE_PGM_RSRC2:TIDIG_COMP_CNT: 2
; COMPUTE_PGM_RSRC3_GFX90A:ACCUM_OFFSET: 5
; COMPUTE_PGM_RSRC3_GFX90A:TG_SPLIT: 0
	.section	.text._Z15sort_key_kernelILj64ELj1ELb0ELb0EnEvPT3_jj,"axG",@progbits,_Z15sort_key_kernelILj64ELj1ELb0ELb0EnEvPT3_jj,comdat
	.protected	_Z15sort_key_kernelILj64ELj1ELb0ELb0EnEvPT3_jj ; -- Begin function _Z15sort_key_kernelILj64ELj1ELb0ELb0EnEvPT3_jj
	.globl	_Z15sort_key_kernelILj64ELj1ELb0ELb0EnEvPT3_jj
	.p2align	8
	.type	_Z15sort_key_kernelILj64ELj1ELb0ELb0EnEvPT3_jj,@function
_Z15sort_key_kernelILj64ELj1ELb0ELb0EnEvPT3_jj: ; @_Z15sort_key_kernelILj64ELj1ELb0ELb0EnEvPT3_jj
; %bb.0:
	s_load_dwordx4 s[16:19], s[4:5], 0x0
	s_load_dword s26, s[4:5], 0x1c
	s_lshl_b32 s0, s6, 6
	s_mov_b32 s1, 0
	s_lshl_b64 s[0:1], s[0:1], 4
	v_and_b32_e32 v6, 0x3ff, v0
	s_waitcnt lgkmcnt(0)
	s_add_u32 s22, s16, s0
	s_addc_u32 s23, s17, s1
	v_lshlrev_b32_e32 v16, 4, v6
	global_load_dwordx4 v[2:5], v16, s[22:23]
	v_mbcnt_lo_u32_b32 v1, -1, 0
	v_bfe_u32 v7, v0, 10, 10
	v_bfe_u32 v8, v0, 20, 10
	v_mbcnt_hi_u32_b32 v0, -1, v1
	v_add_u32_e32 v10, -1, v0
	v_and_b32_e32 v11, 64, v0
	v_cmp_lt_i32_e64 s[16:17], v10, v11
	v_and_b32_e32 v1, 15, v0
	v_and_b32_e32 v9, 16, v0
	v_cmp_lt_u32_e64 s[0:1], 31, v0
	v_cmp_eq_u32_e32 vcc, 0, v0
	v_lshlrev_b32_e32 v17, 4, v0
	v_cndmask_b32_e64 v0, v10, v0, s[16:17]
	s_cmp_eq_u32 s18, 0
	v_cmp_eq_u32_e64 s[4:5], 0, v1
	v_cmp_lt_u32_e64 s[6:7], 1, v1
	v_cmp_lt_u32_e64 s[8:9], 3, v1
	v_cmp_lt_u32_e64 s[10:11], 7, v1
	v_lshlrev_b32_e32 v19, 2, v0
	v_mov_b32_e32 v1, s23
	v_add_co_u32_e64 v0, s[16:17], s22, v16
	s_cselect_b64 s[22:23], -1, 0
	s_cmpk_eq_i32 s19, 0x80
	s_cselect_b64 s[24:25], -1, 0
	s_lshr_b32 s27, s26, 16
	v_cmp_eq_u32_e64 s[14:15], 0, v6
	v_addc_co_u32_e64 v1, s[16:17], 0, v1, s[16:17]
	s_and_b32 s26, s26, 0xffff
	v_mad_u32_u24 v7, v8, s27, v7
	v_cmp_eq_u32_e64 s[2:3], 63, v6
	s_or_b64 s[16:17], s[14:15], vcc
	s_and_b64 s[14:15], s[22:23], s[24:25]
	v_mad_u64_u32 v[6:7], s[22:23], v7, s26, v[6:7]
	s_mov_b64 s[20:21], -1
	v_or_b32_e32 v18, 4, v16
	v_cmp_eq_u32_e64 s[12:13], 0, v9
	s_and_b64 vcc, exec, s[14:15]
	v_lshrrev_b32_e32 v20, 6, v6
	s_waitcnt vmcnt(0)
	v_xor_b32_e32 v5, 0x80000000, v5
	s_cbranch_vccnz .LBB27_10
; %bb.1:
	s_sub_i32 s20, s19, s18
	v_mov_b32_e32 v14, 0
	v_pk_mov_b32 v[10:11], v[2:3], v[2:3] op_sel:[0,1]
	v_pk_mov_b32 v[12:13], v[4:5], v[4:5] op_sel:[0,1]
	s_branch .LBB27_3
.LBB27_2:                               ;   in Loop: Header=BB27_3 Depth=1
	; wave barrier
	ds_write_b128 v15, v[6:9]
	s_waitcnt lgkmcnt(0)
	; wave barrier
	s_waitcnt lgkmcnt(0)
	ds_read_b128 v[10:13], v17
	s_add_i32 s20, s20, -8
	s_waitcnt lgkmcnt(0)
	; wave barrier
	s_waitcnt lgkmcnt(0)
	s_cbranch_execz .LBB27_9
.LBB27_3:                               ; =>This Inner Loop Header: Depth=1
	v_pk_mov_b32 v[8:9], v[12:13], v[12:13] op_sel:[0,1]
	s_sub_i32 s15, 64, s18
	v_pk_mov_b32 v[6:7], v[10:11], v[10:11] op_sel:[0,1]
	s_min_u32 s14, s20, 8
	v_lshlrev_b64 v[12:13], s15, v[8:9]
	s_sub_i32 s15, s18, 64
	v_lshrrev_b64 v[10:11], s18, v[6:7]
	s_cmp_lt_u32 s18, 64
	v_or_b32_e32 v12, v10, v12
	v_lshrrev_b64 v[10:11], s15, v[8:9]
	s_cselect_b64 vcc, -1, 0
	s_cmp_eq_u32 s18, 0
	v_cndmask_b32_e32 v10, v10, v12, vcc
	s_cselect_b64 vcc, -1, 0
	v_cndmask_b32_e32 v10, v10, v6, vcc
	v_bfe_u32 v10, v10, 0, s14
	v_add_u32_e32 v11, v10, v20
	v_lshl_add_u32 v21, v11, 2, 4
	v_and_b32_e32 v11, 1, v10
	v_add_co_u32_e32 v12, vcc, -1, v11
	v_addc_co_u32_e64 v13, s[14:15], 0, -1, vcc
	v_cmp_ne_u32_e32 vcc, 0, v11
	v_lshlrev_b32_e32 v15, 30, v10
	v_xor_b32_e32 v11, vcc_hi, v13
	v_not_b32_e32 v13, v15
	v_xor_b32_e32 v12, vcc_lo, v12
	v_cmp_gt_i64_e32 vcc, 0, v[14:15]
	v_ashrrev_i32_e32 v13, 31, v13
	v_and_b32_e32 v11, exec_hi, v11
	v_xor_b32_e32 v15, vcc_hi, v13
	v_and_b32_e32 v12, exec_lo, v12
	v_xor_b32_e32 v13, vcc_lo, v13
	v_and_b32_e32 v11, v11, v15
	v_lshlrev_b32_e32 v15, 29, v10
	v_and_b32_e32 v12, v12, v13
	v_not_b32_e32 v13, v15
	v_cmp_gt_i64_e32 vcc, 0, v[14:15]
	v_ashrrev_i32_e32 v13, 31, v13
	v_xor_b32_e32 v15, vcc_hi, v13
	v_xor_b32_e32 v13, vcc_lo, v13
	v_and_b32_e32 v11, v11, v15
	v_lshlrev_b32_e32 v15, 28, v10
	v_and_b32_e32 v12, v12, v13
	v_not_b32_e32 v13, v15
	v_cmp_gt_i64_e32 vcc, 0, v[14:15]
	v_ashrrev_i32_e32 v13, 31, v13
	v_xor_b32_e32 v15, vcc_hi, v13
	;; [unrolled: 8-line block ×5, first 2 shown]
	v_and_b32_e32 v11, v11, v15
	v_lshlrev_b32_e32 v15, 24, v10
	v_not_b32_e32 v10, v15
	v_xor_b32_e32 v13, vcc_lo, v13
	v_cmp_gt_i64_e32 vcc, 0, v[14:15]
	v_ashrrev_i32_e32 v10, 31, v10
	v_and_b32_e32 v12, v12, v13
	v_xor_b32_e32 v13, vcc_hi, v10
	v_xor_b32_e32 v10, vcc_lo, v10
	v_and_b32_e32 v10, v12, v10
	v_and_b32_e32 v11, v11, v13
	v_mbcnt_lo_u32_b32 v12, v10, 0
	v_mbcnt_hi_u32_b32 v15, v11, v12
	v_cmp_eq_u32_e32 vcc, 0, v15
	v_cmp_ne_u64_e64 s[14:15], 0, v[10:11]
	s_and_b64 s[22:23], s[14:15], vcc
	ds_write2_b32 v16, v14, v14 offset0:1 offset1:2
	ds_write2_b32 v18, v14, v14 offset0:2 offset1:3
	s_waitcnt lgkmcnt(0)
	; wave barrier
	s_waitcnt lgkmcnt(0)
	; wave barrier
	s_and_saveexec_b64 s[14:15], s[22:23]
	s_cbranch_execz .LBB27_5
; %bb.4:                                ;   in Loop: Header=BB27_3 Depth=1
	v_bcnt_u32_b32 v10, v10, 0
	v_bcnt_u32_b32 v10, v11, v10
	ds_write_b32 v21, v10
.LBB27_5:                               ;   in Loop: Header=BB27_3 Depth=1
	s_or_b64 exec, exec, s[14:15]
	; wave barrier
	s_waitcnt lgkmcnt(0)
	; wave barrier
	s_waitcnt lgkmcnt(0)
	ds_read2_b32 v[12:13], v16 offset0:1 offset1:2
	ds_read2_b32 v[10:11], v18 offset0:2 offset1:3
	s_waitcnt lgkmcnt(1)
	v_add_u32_e32 v22, v13, v12
	s_waitcnt lgkmcnt(0)
	v_add3_u32 v11, v22, v10, v11
	s_nop 1
	v_mov_b32_dpp v22, v11 row_shr:1 row_mask:0xf bank_mask:0xf
	v_cndmask_b32_e64 v22, v22, 0, s[4:5]
	v_add_u32_e32 v11, v22, v11
	s_nop 1
	v_mov_b32_dpp v22, v11 row_shr:2 row_mask:0xf bank_mask:0xf
	v_cndmask_b32_e64 v22, 0, v22, s[6:7]
	v_add_u32_e32 v11, v11, v22
	;; [unrolled: 4-line block ×4, first 2 shown]
	s_nop 1
	v_mov_b32_dpp v22, v11 row_bcast:15 row_mask:0xf bank_mask:0xf
	v_cndmask_b32_e64 v22, v22, 0, s[12:13]
	v_add_u32_e32 v11, v11, v22
	s_nop 1
	v_mov_b32_dpp v22, v11 row_bcast:31 row_mask:0xf bank_mask:0xf
	v_cndmask_b32_e64 v22, 0, v22, s[0:1]
	v_add_u32_e32 v11, v11, v22
	s_and_saveexec_b64 s[14:15], s[2:3]
	s_cbranch_execz .LBB27_7
; %bb.6:                                ;   in Loop: Header=BB27_3 Depth=1
	ds_write_b32 v14, v11
.LBB27_7:                               ;   in Loop: Header=BB27_3 Depth=1
	s_or_b64 exec, exec, s[14:15]
	ds_bpermute_b32 v11, v19, v11
	s_waitcnt lgkmcnt(0)
	; wave barrier
	s_waitcnt lgkmcnt(0)
	s_add_i32 s18, s18, 8
	s_cmp_ge_u32 s18, s19
	v_cndmask_b32_e64 v11, v11, 0, s[16:17]
	v_add_u32_e32 v12, v11, v12
	v_add_u32_e32 v13, v12, v13
	;; [unrolled: 1-line block ×3, first 2 shown]
	ds_write2_b32 v16, v11, v12 offset0:1 offset1:2
	ds_write2_b32 v18, v13, v10 offset0:2 offset1:3
	s_waitcnt lgkmcnt(0)
	; wave barrier
	s_waitcnt lgkmcnt(0)
	ds_read_b32 v10, v21
	v_lshlrev_b32_e32 v11, 4, v15
	s_waitcnt lgkmcnt(0)
	v_lshl_add_u32 v15, v10, 4, v11
	s_cbranch_scc0 .LBB27_2
; %bb.8:
                                        ; implicit-def: $vgpr10_vgpr11
                                        ; implicit-def: $sgpr20
.LBB27_9:
	s_mov_b64 s[20:21], 0
	; wave barrier
	ds_write_b128 v15, v[6:9]
	s_waitcnt lgkmcnt(0)
	; wave barrier
.LBB27_10:
	s_and_b64 vcc, exec, s[20:21]
	s_cbranch_vccz .LBB27_20
; %bb.11:
	s_mov_b32 s18, 0
	v_mov_b32_e32 v10, 0
	s_branch .LBB27_13
.LBB27_12:                              ;   in Loop: Header=BB27_13 Depth=1
	v_lshlrev_b32_e32 v2, 4, v11
	s_waitcnt lgkmcnt(0)
	; wave barrier
	ds_write_b128 v2, v[6:9]
	s_waitcnt lgkmcnt(0)
	; wave barrier
	s_waitcnt lgkmcnt(0)
	ds_read_b128 v[2:5], v17
	s_add_i32 s18, s18, 8
	s_waitcnt lgkmcnt(0)
	; wave barrier
	s_waitcnt lgkmcnt(0)
	s_cbranch_execz .LBB27_19
.LBB27_13:                              ; =>This Inner Loop Header: Depth=1
	v_pk_mov_b32 v[8:9], v[4:5], v[4:5] op_sel:[0,1]
	s_sub_i32 s14, 64, s18
	v_pk_mov_b32 v[6:7], v[2:3], v[2:3] op_sel:[0,1]
	v_lshlrev_b64 v[4:5], s14, v[8:9]
	s_sub_i32 s14, s18, 64
	v_lshrrev_b64 v[2:3], s18, v[6:7]
	s_cmp_lt_u32 s18, 64
	v_or_b32_e32 v4, v2, v4
	v_lshrrev_b64 v[2:3], s14, v[8:9]
	s_cselect_b64 vcc, -1, 0
	s_cmp_eq_u32 s18, 0
	v_cndmask_b32_e32 v2, v2, v4, vcc
	s_cselect_b64 vcc, -1, 0
	v_cndmask_b32_e32 v2, v2, v6, vcc
	v_add_u32_sdwa v3, v2, v20 dst_sel:DWORD dst_unused:UNUSED_PAD src0_sel:BYTE_0 src1_sel:DWORD
	v_lshl_add_u32 v12, v3, 2, 4
	v_and_b32_e32 v3, 1, v2
	v_add_co_u32_e32 v4, vcc, -1, v3
	v_addc_co_u32_e64 v5, s[14:15], 0, -1, vcc
	v_cmp_ne_u32_e32 vcc, 0, v3
	v_lshlrev_b32_e32 v11, 30, v2
	v_xor_b32_e32 v3, vcc_hi, v5
	v_not_b32_e32 v5, v11
	v_xor_b32_e32 v4, vcc_lo, v4
	v_cmp_gt_i64_e32 vcc, 0, v[10:11]
	v_ashrrev_i32_e32 v5, 31, v5
	v_and_b32_e32 v3, exec_hi, v3
	v_xor_b32_e32 v11, vcc_hi, v5
	v_and_b32_e32 v4, exec_lo, v4
	v_xor_b32_e32 v5, vcc_lo, v5
	v_and_b32_e32 v3, v3, v11
	v_lshlrev_b32_e32 v11, 29, v2
	v_and_b32_e32 v4, v4, v5
	v_not_b32_e32 v5, v11
	v_cmp_gt_i64_e32 vcc, 0, v[10:11]
	v_ashrrev_i32_e32 v5, 31, v5
	v_xor_b32_e32 v11, vcc_hi, v5
	v_xor_b32_e32 v5, vcc_lo, v5
	v_and_b32_e32 v3, v3, v11
	v_lshlrev_b32_e32 v11, 28, v2
	v_and_b32_e32 v4, v4, v5
	v_not_b32_e32 v5, v11
	v_cmp_gt_i64_e32 vcc, 0, v[10:11]
	v_ashrrev_i32_e32 v5, 31, v5
	v_xor_b32_e32 v11, vcc_hi, v5
	;; [unrolled: 8-line block ×5, first 2 shown]
	v_and_b32_e32 v3, v3, v11
	v_lshlrev_b32_e32 v11, 24, v2
	v_not_b32_e32 v2, v11
	v_xor_b32_e32 v5, vcc_lo, v5
	v_cmp_gt_i64_e32 vcc, 0, v[10:11]
	v_ashrrev_i32_e32 v2, 31, v2
	v_and_b32_e32 v4, v4, v5
	v_xor_b32_e32 v5, vcc_hi, v2
	v_xor_b32_e32 v2, vcc_lo, v2
	v_and_b32_e32 v2, v4, v2
	v_and_b32_e32 v3, v3, v5
	v_mbcnt_lo_u32_b32 v4, v2, 0
	v_mbcnt_hi_u32_b32 v11, v3, v4
	v_cmp_eq_u32_e32 vcc, 0, v11
	v_cmp_ne_u64_e64 s[14:15], 0, v[2:3]
	s_and_b64 s[20:21], s[14:15], vcc
	ds_write2_b32 v16, v10, v10 offset0:1 offset1:2
	ds_write2_b32 v18, v10, v10 offset0:2 offset1:3
	s_waitcnt lgkmcnt(0)
	; wave barrier
	s_waitcnt lgkmcnt(0)
	; wave barrier
	s_and_saveexec_b64 s[14:15], s[20:21]
	s_cbranch_execz .LBB27_15
; %bb.14:                               ;   in Loop: Header=BB27_13 Depth=1
	v_bcnt_u32_b32 v2, v2, 0
	v_bcnt_u32_b32 v2, v3, v2
	ds_write_b32 v12, v2
.LBB27_15:                              ;   in Loop: Header=BB27_13 Depth=1
	s_or_b64 exec, exec, s[14:15]
	; wave barrier
	s_waitcnt lgkmcnt(0)
	; wave barrier
	s_waitcnt lgkmcnt(0)
	ds_read2_b32 v[4:5], v16 offset0:1 offset1:2
	ds_read2_b32 v[2:3], v18 offset0:2 offset1:3
	s_waitcnt lgkmcnt(1)
	v_add_u32_e32 v13, v5, v4
	s_waitcnt lgkmcnt(0)
	v_add3_u32 v3, v13, v2, v3
	s_nop 1
	v_mov_b32_dpp v13, v3 row_shr:1 row_mask:0xf bank_mask:0xf
	v_cndmask_b32_e64 v13, v13, 0, s[4:5]
	v_add_u32_e32 v3, v13, v3
	s_nop 1
	v_mov_b32_dpp v13, v3 row_shr:2 row_mask:0xf bank_mask:0xf
	v_cndmask_b32_e64 v13, 0, v13, s[6:7]
	v_add_u32_e32 v3, v3, v13
	;; [unrolled: 4-line block ×4, first 2 shown]
	s_nop 1
	v_mov_b32_dpp v13, v3 row_bcast:15 row_mask:0xf bank_mask:0xf
	v_cndmask_b32_e64 v13, v13, 0, s[12:13]
	v_add_u32_e32 v3, v3, v13
	s_nop 1
	v_mov_b32_dpp v13, v3 row_bcast:31 row_mask:0xf bank_mask:0xf
	v_cndmask_b32_e64 v13, 0, v13, s[0:1]
	v_add_u32_e32 v3, v3, v13
	s_and_saveexec_b64 s[14:15], s[2:3]
	s_cbranch_execz .LBB27_17
; %bb.16:                               ;   in Loop: Header=BB27_13 Depth=1
	ds_write_b32 v10, v3
.LBB27_17:                              ;   in Loop: Header=BB27_13 Depth=1
	s_or_b64 exec, exec, s[14:15]
	ds_bpermute_b32 v3, v19, v3
	s_waitcnt lgkmcnt(0)
	; wave barrier
	s_waitcnt lgkmcnt(0)
	s_cmpk_gt_u32 s18, 0x77
	v_cndmask_b32_e64 v3, v3, 0, s[16:17]
	v_add_u32_e32 v4, v3, v4
	v_add_u32_e32 v5, v4, v5
	;; [unrolled: 1-line block ×3, first 2 shown]
	ds_write2_b32 v16, v3, v4 offset0:1 offset1:2
	ds_write2_b32 v18, v5, v2 offset0:2 offset1:3
	s_waitcnt lgkmcnt(0)
	; wave barrier
	s_waitcnt lgkmcnt(0)
	ds_read_b32 v2, v12
	s_waitcnt lgkmcnt(0)
	v_add_u32_e32 v11, v2, v11
	s_cbranch_scc0 .LBB27_12
; %bb.18:
                                        ; implicit-def: $sgpr18
                                        ; implicit-def: $vgpr2_vgpr3
.LBB27_19:
	v_lshlrev_b32_e32 v2, 4, v11
	s_waitcnt lgkmcnt(0)
	; wave barrier
	ds_write_b128 v2, v[6:9]
	s_waitcnt lgkmcnt(0)
	; wave barrier
.LBB27_20:
	s_waitcnt lgkmcnt(0)
	ds_read_b128 v[2:5], v16
	s_waitcnt lgkmcnt(0)
	v_xor_b32_e32 v5, 0x80000000, v5
	global_store_dwordx4 v[0:1], v[2:5], off
	s_endpgm
	.section	.rodata,"a",@progbits
	.p2align	6, 0x0
	.amdhsa_kernel _Z15sort_key_kernelILj64ELj1ELb0ELb0EnEvPT3_jj
		.amdhsa_group_segment_fixed_size 1040
		.amdhsa_private_segment_fixed_size 0
		.amdhsa_kernarg_size 272
		.amdhsa_user_sgpr_count 6
		.amdhsa_user_sgpr_private_segment_buffer 1
		.amdhsa_user_sgpr_dispatch_ptr 0
		.amdhsa_user_sgpr_queue_ptr 0
		.amdhsa_user_sgpr_kernarg_segment_ptr 1
		.amdhsa_user_sgpr_dispatch_id 0
		.amdhsa_user_sgpr_flat_scratch_init 0
		.amdhsa_user_sgpr_kernarg_preload_length 0
		.amdhsa_user_sgpr_kernarg_preload_offset 0
		.amdhsa_user_sgpr_private_segment_size 0
		.amdhsa_uses_dynamic_stack 0
		.amdhsa_system_sgpr_private_segment_wavefront_offset 0
		.amdhsa_system_sgpr_workgroup_id_x 1
		.amdhsa_system_sgpr_workgroup_id_y 0
		.amdhsa_system_sgpr_workgroup_id_z 0
		.amdhsa_system_sgpr_workgroup_info 0
		.amdhsa_system_vgpr_workitem_id 2
		.amdhsa_next_free_vgpr 23
		.amdhsa_next_free_sgpr 28
		.amdhsa_accum_offset 24
		.amdhsa_reserve_vcc 1
		.amdhsa_reserve_flat_scratch 0
		.amdhsa_float_round_mode_32 0
		.amdhsa_float_round_mode_16_64 0
		.amdhsa_float_denorm_mode_32 3
		.amdhsa_float_denorm_mode_16_64 3
		.amdhsa_dx10_clamp 1
		.amdhsa_ieee_mode 1
		.amdhsa_fp16_overflow 0
		.amdhsa_tg_split 0
		.amdhsa_exception_fp_ieee_invalid_op 0
		.amdhsa_exception_fp_denorm_src 0
		.amdhsa_exception_fp_ieee_div_zero 0
		.amdhsa_exception_fp_ieee_overflow 0
		.amdhsa_exception_fp_ieee_underflow 0
		.amdhsa_exception_fp_ieee_inexact 0
		.amdhsa_exception_int_div_zero 0
	.end_amdhsa_kernel
	.section	.text._Z15sort_key_kernelILj64ELj1ELb0ELb0EnEvPT3_jj,"axG",@progbits,_Z15sort_key_kernelILj64ELj1ELb0ELb0EnEvPT3_jj,comdat
.Lfunc_end27:
	.size	_Z15sort_key_kernelILj64ELj1ELb0ELb0EnEvPT3_jj, .Lfunc_end27-_Z15sort_key_kernelILj64ELj1ELb0ELb0EnEvPT3_jj
                                        ; -- End function
	.section	.AMDGPU.csdata,"",@progbits
; Kernel info:
; codeLenInByte = 2004
; NumSgprs: 32
; NumVgprs: 23
; NumAgprs: 0
; TotalNumVgprs: 23
; ScratchSize: 0
; MemoryBound: 0
; FloatMode: 240
; IeeeMode: 1
; LDSByteSize: 1040 bytes/workgroup (compile time only)
; SGPRBlocks: 3
; VGPRBlocks: 2
; NumSGPRsForWavesPerEU: 32
; NumVGPRsForWavesPerEU: 23
; AccumOffset: 24
; Occupancy: 8
; WaveLimiterHint : 0
; COMPUTE_PGM_RSRC2:SCRATCH_EN: 0
; COMPUTE_PGM_RSRC2:USER_SGPR: 6
; COMPUTE_PGM_RSRC2:TRAP_HANDLER: 0
; COMPUTE_PGM_RSRC2:TGID_X_EN: 1
; COMPUTE_PGM_RSRC2:TGID_Y_EN: 0
; COMPUTE_PGM_RSRC2:TGID_Z_EN: 0
; COMPUTE_PGM_RSRC2:TIDIG_COMP_CNT: 2
; COMPUTE_PGM_RSRC3_GFX90A:ACCUM_OFFSET: 5
; COMPUTE_PGM_RSRC3_GFX90A:TG_SPLIT: 0
	.section	.text._Z21sort_key_value_kernelILj255ELj1ELb1ELb0EN10test_utils16custom_test_typeIhEEfEvPT3_PT4_jj,"axG",@progbits,_Z21sort_key_value_kernelILj255ELj1ELb1ELb0EN10test_utils16custom_test_typeIhEEfEvPT3_PT4_jj,comdat
	.protected	_Z21sort_key_value_kernelILj255ELj1ELb1ELb0EN10test_utils16custom_test_typeIhEEfEvPT3_PT4_jj ; -- Begin function _Z21sort_key_value_kernelILj255ELj1ELb1ELb0EN10test_utils16custom_test_typeIhEEfEvPT3_PT4_jj
	.globl	_Z21sort_key_value_kernelILj255ELj1ELb1ELb0EN10test_utils16custom_test_typeIhEEfEvPT3_PT4_jj
	.p2align	8
	.type	_Z21sort_key_value_kernelILj255ELj1ELb1ELb0EN10test_utils16custom_test_typeIhEEfEvPT3_PT4_jj,@function
_Z21sort_key_value_kernelILj255ELj1ELb1ELb0EN10test_utils16custom_test_typeIhEEfEvPT3_PT4_jj: ; @_Z21sort_key_value_kernelILj255ELj1ELb1ELb0EN10test_utils16custom_test_typeIhEEfEvPT3_PT4_jj
; %bb.0:
	s_load_dwordx4 s[0:3], s[4:5], 0x0
	s_load_dwordx2 s[30:31], s[4:5], 0x10
	s_mul_i32 s4, s6, 0xff
	s_mov_b32 s5, 0
	s_lshl_b64 s[6:7], s[4:5], 1
	s_waitcnt lgkmcnt(0)
	s_add_u32 s26, s0, s6
	s_addc_u32 s27, s1, s7
	s_lshl_b64 s[0:1], s[4:5], 2
	v_lshlrev_b32_e32 v11, 1, v0
	s_add_u32 s28, s2, s0
	global_load_ushort v21, v11, s[26:27]
	s_addc_u32 s29, s3, s1
	v_lshlrev_b32_e32 v16, 2, v0
	global_load_dword v20, v16, s[28:29]
	s_cmp_lg_u32 s30, 0
	s_cselect_b64 s[4:5], -1, 0
	s_cmp_lg_u32 s31, 16
	s_cselect_b64 s[6:7], -1, 0
	s_or_b64 s[4:5], s[4:5], s[6:7]
	v_mbcnt_lo_u32_b32 v19, -1, 0
	v_lshlrev_b32_e32 v15, 5, v0
	v_cmp_gt_u32_e64 s[0:1], 4, v0
	v_cmp_lt_u32_e64 s[2:3], 63, v0
	v_lshrrev_b32_e32 v17, 4, v0
	v_mov_b32_e32 v12, s27
	v_mov_b32_e32 v13, s29
	s_and_b64 vcc, exec, s[4:5]
	s_waitcnt vmcnt(1)
	v_lshrrev_b16_e32 v23, 8, v21
	s_cbranch_vccz .LBB28_22
; %bb.1:
	v_mbcnt_hi_u32_b32 v1, -1, v19
	v_and_b32_e32 v2, 15, v1
	v_cmp_eq_u32_e64 s[4:5], 0, v2
	v_cmp_lt_u32_e64 s[6:7], 1, v2
	v_cmp_lt_u32_e64 s[8:9], 3, v2
	;; [unrolled: 1-line block ×3, first 2 shown]
	v_and_b32_e32 v2, 16, v1
	v_cmp_eq_u32_e64 s[12:13], 0, v2
	v_and_b32_e32 v2, 0xc0, v0
	v_min_u32_e32 v2, 0xbf, v2
	v_add_u32_e32 v2, 63, v2
	v_cmp_eq_u32_e64 s[16:17], v2, v0
	v_add_u32_e32 v2, -1, v1
	v_and_b32_e32 v3, 64, v1
	v_cmp_lt_i32_e32 vcc, v2, v3
	v_cmp_lt_u32_e64 s[14:15], 31, v1
	v_cndmask_b32_e32 v2, v2, v1, vcc
	v_cmp_eq_u32_e64 s[18:19], 0, v1
	v_and_b32_e32 v1, 3, v1
	v_cmp_eq_u32_e64 s[20:21], 0, v1
	v_cmp_lt_u32_e64 s[22:23], 1, v1
	v_sub_u32_e32 v1, 0x6f8, v0
	s_mov_b32 s24, 0x1010102
	v_mul_hi_u32 v1, v1, s24
	v_lshlrev_b32_e32 v18, 2, v2
	v_add_u32_e32 v2, 3, v1
	v_add_u32_e32 v10, 1, v1
	v_and_b32_e32 v22, 12, v17
	v_sub_u32_e32 v14, v16, v11
	v_and_b32_e32 v25, 30, v2
	v_mov_b32_e32 v1, v10
	v_mov_b32_e32 v26, 0
	;; [unrolled: 1-line block ×4, first 2 shown]
	s_waitcnt vmcnt(0)
	v_mov_b32_e32 v4, v20
	s_branch .LBB28_3
.LBB28_2:                               ;   in Loop: Header=BB28_3 Depth=1
	s_barrier
	ds_write_b16 v2, v3
	s_waitcnt lgkmcnt(0)
	s_barrier
	ds_read_u16 v27, v14
	v_add_u32_e32 v4, v2, v2
	s_waitcnt lgkmcnt(0)
	s_barrier
	ds_write_b32 v4, v24
	s_waitcnt lgkmcnt(0)
	s_barrier
	ds_read_b32 v4, v16
	v_lshrrev_b16_e32 v28, 8, v27
	s_waitcnt lgkmcnt(0)
	s_barrier
	s_cbranch_execz .LBB28_21
.LBB28_3:                               ; =>This Loop Header: Depth=1
                                        ;     Child Loop BB28_5 Depth 2
	v_mov_b32_e32 v24, v4
	s_mov_b32 s27, 0
	s_mov_b64 s[34:35], 0
	v_mov_b32_e32 v2, v16
	s_branch .LBB28_5
.LBB28_4:                               ;   in Loop: Header=BB28_5 Depth=2
	s_or_b64 exec, exec, s[24:25]
	s_add_i32 s27, s27, 2
	v_cmp_eq_u32_e32 vcc, s27, v25
	s_or_b64 s[34:35], vcc, s[34:35]
	v_add_u32_e32 v2, 0x7f8, v2
	s_andn2_b64 exec, exec, s[34:35]
	s_cbranch_execz .LBB28_9
.LBB28_5:                               ;   Parent Loop BB28_3 Depth=1
                                        ; =>  This Inner Loop Header: Depth=2
	s_or_b32 s24, s27, 1
	v_cmp_le_u32_e32 vcc, s24, v1
	v_cmp_le_u32_e64 s[24:25], s27, v10
	s_and_saveexec_b64 s[36:37], s[24:25]
	s_cbranch_execz .LBB28_7
; %bb.6:                                ;   in Loop: Header=BB28_5 Depth=2
	ds_write_b32 v2, v26
.LBB28_7:                               ;   in Loop: Header=BB28_5 Depth=2
	s_or_b64 exec, exec, s[36:37]
	s_and_saveexec_b64 s[24:25], vcc
	s_cbranch_execz .LBB28_4
; %bb.8:                                ;   in Loop: Header=BB28_5 Depth=2
	ds_write_b32 v2, v26 offset:1020
	s_branch .LBB28_4
.LBB28_9:                               ;   in Loop: Header=BB28_3 Depth=1
	s_or_b64 exec, exec, s[34:35]
	s_sub_i32 s24, s31, s30
	s_min_u32 s24, s24, 4
	s_add_i32 s25, s24, s30
	s_cmp_gt_i32 s30, 7
	s_cselect_b64 s[34:35], -1, 0
	s_cmp_lt_i32 s25, 1
	s_cselect_b64 s[36:37], -1, 0
	s_or_b64 s[34:35], s[34:35], s[36:37]
	s_and_b64 vcc, exec, s[34:35]
	v_mov_b32_e32 v2, 0
	s_cbranch_vccnz .LBB28_11
; %bb.10:                               ;   in Loop: Header=BB28_3 Depth=1
	s_sub_i32 s27, 0, s30
	s_max_i32 s27, s27, 0
	s_max_i32 s29, s30, 0
	s_add_i32 s33, s27, s30
	s_sub_i32 s33, s29, s33
	s_add_i32 s33, s33, s25
	s_min_i32 s33, s33, 8
	s_sub_i32 s33, s33, s29
	v_lshrrev_b32_sdwa v2, s29, v28 dst_sel:DWORD dst_unused:UNUSED_PAD src0_sel:DWORD src1_sel:BYTE_0
	v_bfe_u32 v2, v2, 0, s33
	v_lshlrev_b32_e32 v2, s27, v2
.LBB28_11:                              ;   in Loop: Header=BB28_3 Depth=1
	s_cmp_gt_i32 s30, 15
	s_cselect_b64 s[34:35], -1, 0
	s_cmp_lt_i32 s25, 9
	s_cselect_b64 s[36:37], -1, 0
	s_or_b64 s[34:35], s[34:35], s[36:37]
	s_and_b64 vcc, exec, s[34:35]
	s_cbranch_vccnz .LBB28_13
; %bb.12:                               ;   in Loop: Header=BB28_3 Depth=1
	s_max_i32 s27, s30, 8
	s_sub_i32 s25, 8, s30
	s_add_i32 s27, s27, -8
	s_max_i32 s25, s25, 0
	s_add_i32 s24, s27, s24
	s_sub_i32 s24, s24, s25
	s_min_i32 s24, s24, 8
	s_sub_i32 s24, s24, s27
	v_lshrrev_b32_sdwa v3, s27, v27 dst_sel:DWORD dst_unused:UNUSED_PAD src0_sel:DWORD src1_sel:BYTE_0
	v_bfe_u32 v3, v3, 0, s24
	v_lshl_or_b32 v2, v3, s25, v2
.LBB28_13:                              ;   in Loop: Header=BB28_3 Depth=1
	v_and_b32_e32 v3, 7, v2
	v_mul_u32_u24_e32 v3, 0xff, v3
	v_lshrrev_b32_e32 v2, 3, v2
	v_add_lshl_u32 v3, v3, v0, 1
	v_add_lshl_u32 v29, v3, v2, 1
	ds_read_u16 v30, v29
	s_waitcnt lgkmcnt(0)
	v_add_u16_e32 v2, 1, v30
	ds_write_b16 v29, v2
	s_waitcnt lgkmcnt(0)
	s_barrier
	ds_read2_b64 v[6:9], v15 offset1:1
	ds_read2_b64 v[2:5], v15 offset0:2 offset1:3
	s_waitcnt lgkmcnt(1)
	v_add_u32_e32 v31, v7, v6
	v_add3_u32 v31, v31, v8, v9
	s_waitcnt lgkmcnt(0)
	v_add3_u32 v31, v31, v2, v3
	v_add3_u32 v5, v31, v4, v5
	s_nop 1
	v_mov_b32_dpp v31, v5 row_shr:1 row_mask:0xf bank_mask:0xf
	v_cndmask_b32_e64 v31, v31, 0, s[4:5]
	v_add_u32_e32 v5, v31, v5
	s_nop 1
	v_mov_b32_dpp v31, v5 row_shr:2 row_mask:0xf bank_mask:0xf
	v_cndmask_b32_e64 v31, 0, v31, s[6:7]
	v_add_u32_e32 v5, v5, v31
	;; [unrolled: 4-line block ×4, first 2 shown]
	s_nop 1
	v_mov_b32_dpp v31, v5 row_bcast:15 row_mask:0xf bank_mask:0xf
	v_cndmask_b32_e64 v31, v31, 0, s[12:13]
	v_add_u32_e32 v5, v5, v31
	s_nop 1
	v_mov_b32_dpp v31, v5 row_bcast:31 row_mask:0xf bank_mask:0xf
	v_cndmask_b32_e64 v31, 0, v31, s[14:15]
	v_add_u32_e32 v5, v5, v31
	s_and_saveexec_b64 s[24:25], s[16:17]
	s_cbranch_execz .LBB28_15
; %bb.14:                               ;   in Loop: Header=BB28_3 Depth=1
	ds_write_b32 v22, v5 offset:8160
.LBB28_15:                              ;   in Loop: Header=BB28_3 Depth=1
	s_or_b64 exec, exec, s[24:25]
	s_waitcnt lgkmcnt(0)
	s_barrier
	s_and_saveexec_b64 s[24:25], s[0:1]
	s_cbranch_execz .LBB28_17
; %bb.16:                               ;   in Loop: Header=BB28_3 Depth=1
	ds_read_b32 v31, v16 offset:8160
	s_waitcnt lgkmcnt(0)
	s_nop 0
	v_mov_b32_dpp v32, v31 row_shr:1 row_mask:0xf bank_mask:0xf
	v_cndmask_b32_e64 v32, v32, 0, s[20:21]
	v_add_u32_e32 v31, v32, v31
	s_nop 1
	v_mov_b32_dpp v32, v31 row_shr:2 row_mask:0xf bank_mask:0xf
	v_cndmask_b32_e64 v32, 0, v32, s[22:23]
	v_add_u32_e32 v31, v31, v32
	ds_write_b32 v16, v31 offset:8160
.LBB28_17:                              ;   in Loop: Header=BB28_3 Depth=1
	s_or_b64 exec, exec, s[24:25]
	v_mov_b32_e32 v31, 0
	s_waitcnt lgkmcnt(0)
	s_barrier
	s_and_saveexec_b64 s[24:25], s[2:3]
	s_cbranch_execz .LBB28_19
; %bb.18:                               ;   in Loop: Header=BB28_3 Depth=1
	ds_read_b32 v31, v22 offset:8156
.LBB28_19:                              ;   in Loop: Header=BB28_3 Depth=1
	s_or_b64 exec, exec, s[24:25]
	s_waitcnt lgkmcnt(0)
	v_add_u32_e32 v5, v31, v5
	ds_bpermute_b32 v5, v18, v5
	ds_read_b32 v32, v26 offset:8172
	v_and_b32_e32 v33, 0xffff, v30
	v_lshlrev_b16_e32 v28, 8, v28
	s_add_i32 s30, s30, 4
	s_waitcnt lgkmcnt(1)
	v_cndmask_b32_e64 v5, v5, v31, s[18:19]
	s_waitcnt lgkmcnt(0)
	v_lshl_add_u32 v30, v32, 16, v5
	v_add_u32_e32 v31, v30, v6
	v_add_u32_e32 v6, v31, v7
	;; [unrolled: 1-line block ×7, first 2 shown]
	ds_write2_b64 v15, v[30:31], v[6:7] offset1:1
	ds_write2_b64 v15, v[8:9], v[2:3] offset0:2 offset1:3
	s_waitcnt lgkmcnt(0)
	s_barrier
	ds_read_u16 v2, v29
	v_or_b32_sdwa v3, v28, v27 dst_sel:DWORD dst_unused:UNUSED_PAD src0_sel:DWORD src1_sel:BYTE_0
	s_cmp_ge_u32 s30, s31
	s_waitcnt lgkmcnt(0)
	v_add_lshl_u32 v2, v2, v33, 1
	s_cbranch_scc0 .LBB28_2
; %bb.20:
                                        ; implicit-def: $vgpr4
                                        ; implicit-def: $vgpr27
                                        ; implicit-def: $vgpr28
.LBB28_21:
	s_barrier
	ds_write_b16 v2, v3
	s_waitcnt lgkmcnt(0)
	s_barrier
	ds_read_u16 v1, v14
	v_add_u32_e32 v2, v2, v2
	s_waitcnt lgkmcnt(0)
	s_barrier
	v_lshrrev_b16_e32 v3, 8, v1
	ds_write_b32 v2, v24
	s_waitcnt lgkmcnt(0)
	s_barrier
	s_mov_b64 s[0:1], 0
	s_branch .LBB28_23
.LBB28_22:
	s_mov_b64 s[0:1], -1
                                        ; implicit-def: $vgpr1
                                        ; implicit-def: $vgpr3
.LBB28_23:
	v_add_co_u32_e32 v10, vcc, s26, v11
	v_addc_co_u32_e32 v11, vcc, 0, v12, vcc
	v_add_co_u32_e32 v12, vcc, s28, v16
	v_addc_co_u32_e32 v13, vcc, 0, v13, vcc
	s_and_b64 vcc, exec, s[0:1]
	s_cbranch_vccz .LBB28_73
; %bb.24:
	v_sub_u32_e32 v1, 0x6f8, v0
	s_mov_b32 s0, 0x1010102
	v_mul_hi_u32 v1, v1, s0
	v_add_u32_e32 v2, 3, v1
	v_add_u32_e32 v14, 1, v1
	v_and_b32_e32 v18, 30, v2
	v_mov_b32_e32 v1, v14
	v_lshlrev_b32_e32 v2, 2, v0
	s_mov_b32 s6, 0
	s_mov_b64 s[2:3], 0
	v_mov_b32_e32 v3, 0
	s_branch .LBB28_26
.LBB28_25:                              ;   in Loop: Header=BB28_26 Depth=1
	s_or_b64 exec, exec, s[0:1]
	s_add_i32 s6, s6, 2
	v_cmp_eq_u32_e32 vcc, s6, v18
	s_or_b64 s[2:3], vcc, s[2:3]
	v_add_u32_e32 v2, 0x7f8, v2
	s_andn2_b64 exec, exec, s[2:3]
	s_cbranch_execz .LBB28_30
.LBB28_26:                              ; =>This Inner Loop Header: Depth=1
	s_or_b32 s0, s6, 1
	v_cmp_le_u32_e32 vcc, s0, v1
	v_cmp_le_u32_e64 s[0:1], s6, v14
	s_and_saveexec_b64 s[4:5], s[0:1]
	s_cbranch_execz .LBB28_28
; %bb.27:                               ;   in Loop: Header=BB28_26 Depth=1
	ds_write_b32 v2, v3
.LBB28_28:                              ;   in Loop: Header=BB28_26 Depth=1
	s_or_b64 exec, exec, s[4:5]
	s_and_saveexec_b64 s[0:1], vcc
	s_cbranch_execz .LBB28_25
; %bb.29:                               ;   in Loop: Header=BB28_26 Depth=1
	ds_write_b32 v2, v3 offset:1020
	s_branch .LBB28_25
.LBB28_30:
	s_or_b64 exec, exec, s[2:3]
	v_and_b32_e32 v3, 15, v23
	v_mov_b32_e32 v4, 7
	v_mov_b32_e32 v5, 2
	v_and_b32_sdwa v4, v3, v4 dst_sel:DWORD dst_unused:UNUSED_PAD src0_sel:WORD_0 src1_sel:DWORD
	s_movk_i32 s0, 0xff
	v_lshrrev_b32_sdwa v3, v5, v3 dst_sel:DWORD dst_unused:UNUSED_PAD src0_sel:DWORD src1_sel:WORD_0
	v_mad_u32_u24 v4, v4, s0, v0
	v_and_b32_e32 v3, 2, v3
	v_lshl_or_b32 v25, v4, 2, v3
	ds_read_u16 v26, v25
	v_and_b32_e32 v2, 0xc0, v0
	v_mbcnt_hi_u32_b32 v24, -1, v19
	v_min_u32_e32 v2, 0xbf, v2
	v_add_u32_e32 v19, 63, v2
	s_waitcnt lgkmcnt(0)
	v_add_u16_e32 v3, 1, v26
	ds_write_b16 v25, v3
	s_waitcnt lgkmcnt(0)
	s_barrier
	ds_read2_b64 v[6:9], v15 offset1:1
	v_and_b32_e32 v2, 16, v24
	v_cmp_eq_u32_e64 s[0:1], 0, v2
	ds_read2_b64 v[2:5], v15 offset0:2 offset1:3
	v_cmp_eq_u32_e32 vcc, v19, v0
	v_and_b32_e32 v19, 12, v17
	s_waitcnt lgkmcnt(1)
	v_add_u32_e32 v17, v7, v6
	v_add3_u32 v17, v17, v8, v9
	s_waitcnt lgkmcnt(0)
	v_add3_u32 v17, v17, v2, v3
	v_and_b32_e32 v22, 15, v24
	v_add3_u32 v5, v17, v4, v5
	v_cmp_eq_u32_e64 s[6:7], 0, v22
	v_cmp_lt_u32_e64 s[8:9], 1, v22
	v_mov_b32_dpp v17, v5 row_shr:1 row_mask:0xf bank_mask:0xf
	v_cndmask_b32_e64 v17, v17, 0, s[6:7]
	v_add_u32_e32 v5, v17, v5
	v_cmp_lt_u32_e64 s[10:11], 3, v22
	v_cmp_lt_u32_e64 s[12:13], 7, v22
	v_mov_b32_dpp v17, v5 row_shr:2 row_mask:0xf bank_mask:0xf
	v_cndmask_b32_e64 v17, 0, v17, s[8:9]
	v_add_u32_e32 v5, v5, v17
	v_bfe_i32 v27, v24, 4, 1
	v_cmp_lt_u32_e64 s[16:17], 31, v24
	v_mov_b32_dpp v17, v5 row_shr:4 row_mask:0xf bank_mask:0xf
	v_cndmask_b32_e64 v17, 0, v17, s[10:11]
	v_add_u32_e32 v5, v5, v17
	v_mul_i32_i24_e32 v16, 0xffffffe2, v0
	s_nop 0
	v_mov_b32_dpp v17, v5 row_shr:8 row_mask:0xf bank_mask:0xf
	v_cndmask_b32_e64 v17, 0, v17, s[12:13]
	v_add_u32_e32 v5, v5, v17
	s_nop 1
	v_mov_b32_dpp v17, v5 row_bcast:15 row_mask:0xf bank_mask:0xf
	v_and_b32_e32 v17, v27, v17
	v_add_u32_e32 v5, v5, v17
	s_nop 1
	v_mov_b32_dpp v17, v5 row_bcast:31 row_mask:0xf bank_mask:0xf
	v_cndmask_b32_e64 v17, 0, v17, s[16:17]
	v_add_u32_e32 v27, v5, v17
	s_and_saveexec_b64 s[2:3], vcc
	s_cbranch_execz .LBB28_32
; %bb.31:
	ds_write_b32 v19, v27 offset:8160
.LBB28_32:
	s_or_b64 exec, exec, s[2:3]
	v_and_b32_e32 v5, 3, v24
	v_add_u32_e32 v17, v15, v16
	v_cmp_gt_u32_e64 s[14:15], 4, v0
	v_cmp_eq_u32_e64 s[4:5], 0, v5
	v_lshl_add_u32 v16, v0, 1, v17
	v_cmp_lt_u32_e64 s[2:3], 1, v5
	s_waitcnt lgkmcnt(0)
	s_barrier
	s_and_saveexec_b64 s[18:19], s[14:15]
	s_cbranch_execz .LBB28_34
; %bb.33:
	ds_read_b32 v5, v16 offset:8160
	s_waitcnt lgkmcnt(0)
	s_nop 0
	v_mov_b32_dpp v22, v5 row_shr:1 row_mask:0xf bank_mask:0xf
	v_cndmask_b32_e64 v22, v22, 0, s[4:5]
	v_add_u32_e32 v5, v22, v5
	s_nop 1
	v_mov_b32_dpp v22, v5 row_shr:2 row_mask:0xf bank_mask:0xf
	v_cndmask_b32_e64 v22, 0, v22, s[2:3]
	v_add_u32_e32 v5, v5, v22
	ds_write_b32 v16, v5 offset:8160
.LBB28_34:
	s_or_b64 exec, exec, s[18:19]
	v_cmp_lt_u32_e64 s[18:19], 63, v0
	v_mov_b32_e32 v5, 0
	v_mov_b32_e32 v28, 0
	s_waitcnt lgkmcnt(0)
	s_barrier
	s_and_saveexec_b64 s[20:21], s[18:19]
	s_cbranch_execz .LBB28_36
; %bb.35:
	ds_read_b32 v28, v19 offset:8156
.LBB28_36:
	s_or_b64 exec, exec, s[20:21]
	v_and_b32_e32 v22, 64, v24
	v_add_u32_e32 v29, -1, v24
	v_cmp_lt_i32_e64 s[20:21], v29, v22
	v_cndmask_b32_e64 v22, v29, v24, s[20:21]
	v_lshlrev_b32_e32 v22, 2, v22
	s_waitcnt lgkmcnt(0)
	v_add_u32_e32 v27, v28, v27
	ds_bpermute_b32 v27, v22, v27
	ds_read_b32 v29, v5 offset:8172
	v_cmp_eq_u32_e64 s[20:21], 0, v24
	v_lshlrev_b16_e32 v23, 8, v23
	v_or_b32_sdwa v21, v23, v21 dst_sel:DWORD dst_unused:UNUSED_PAD src0_sel:DWORD src1_sel:BYTE_0
	s_waitcnt lgkmcnt(1)
	v_cndmask_b32_e64 v24, v27, v28, s[20:21]
	v_and_b32_e32 v23, 0xffff, v26
	s_waitcnt lgkmcnt(0)
	v_lshl_add_u32 v26, v29, 16, v24
	v_add_u32_e32 v27, v26, v6
	v_add_u32_e32 v6, v27, v7
	;; [unrolled: 1-line block ×7, first 2 shown]
	ds_write2_b64 v15, v[26:27], v[6:7] offset1:1
	ds_write2_b64 v15, v[8:9], v[2:3] offset0:2 offset1:3
	s_waitcnt lgkmcnt(0)
	s_barrier
	ds_read_u16 v2, v25
	s_waitcnt lgkmcnt(0)
	s_barrier
	s_mov_b32 s30, 0
	v_add_lshl_u32 v2, v2, v23, 1
	ds_write_b16 v2, v21
	v_add_u32_e32 v2, v2, v2
	s_waitcnt lgkmcnt(0)
	s_barrier
	ds_read_u16 v21, v17
	s_waitcnt lgkmcnt(0)
	s_barrier
	s_waitcnt vmcnt(0)
	ds_write_b32 v2, v20
	s_waitcnt lgkmcnt(0)
	s_barrier
	ds_read_b32 v20, v16
	s_mov_b64 s[26:27], 0
	v_mov_b32_e32 v2, v16
	s_waitcnt lgkmcnt(0)
	s_barrier
	s_branch .LBB28_38
.LBB28_37:                              ;   in Loop: Header=BB28_38 Depth=1
	s_or_b64 exec, exec, s[24:25]
	s_add_i32 s30, s30, 2
	v_cmp_eq_u32_e64 s[22:23], s30, v18
	s_or_b64 s[26:27], s[22:23], s[26:27]
	v_add_u32_e32 v2, 0x7f8, v2
	s_andn2_b64 exec, exec, s[26:27]
	s_cbranch_execz .LBB28_42
.LBB28_38:                              ; =>This Inner Loop Header: Depth=1
	s_or_b32 s22, s30, 1
	v_cmp_le_u32_e64 s[22:23], s22, v1
	v_cmp_le_u32_e64 s[24:25], s30, v14
	s_and_saveexec_b64 s[28:29], s[24:25]
	s_cbranch_execz .LBB28_40
; %bb.39:                               ;   in Loop: Header=BB28_38 Depth=1
	ds_write_b32 v2, v5
.LBB28_40:                              ;   in Loop: Header=BB28_38 Depth=1
	s_or_b64 exec, exec, s[28:29]
	s_and_saveexec_b64 s[24:25], s[22:23]
	s_cbranch_execz .LBB28_37
; %bb.41:                               ;   in Loop: Header=BB28_38 Depth=1
	ds_write_b32 v2, v5 offset:1020
	s_branch .LBB28_37
.LBB28_42:
	s_or_b64 exec, exec, s[26:27]
	v_lshrrev_b16_e32 v2, 12, v21
	v_and_b32_e32 v3, 7, v2
	s_movk_i32 s22, 0xff
	v_lshrrev_b32_e32 v2, 2, v2
	v_mad_u32_u24 v3, v3, s22, v0
	v_and_b32_e32 v2, 2, v2
	v_lshl_or_b32 v23, v3, 2, v2
	ds_read_u16 v24, v23
	s_waitcnt lgkmcnt(0)
	v_add_u16_e32 v2, 1, v24
	ds_write_b16 v23, v2
	s_waitcnt lgkmcnt(0)
	s_barrier
	ds_read2_b64 v[6:9], v15 offset1:1
	ds_read2_b64 v[2:5], v15 offset0:2 offset1:3
	s_waitcnt lgkmcnt(1)
	v_add_u32_e32 v25, v7, v6
	v_add3_u32 v25, v25, v8, v9
	s_waitcnt lgkmcnt(0)
	v_add3_u32 v25, v25, v2, v3
	v_add3_u32 v5, v25, v4, v5
	s_nop 1
	v_mov_b32_dpp v25, v5 row_shr:1 row_mask:0xf bank_mask:0xf
	v_cndmask_b32_e64 v25, v25, 0, s[6:7]
	v_add_u32_e32 v5, v25, v5
	s_nop 1
	v_mov_b32_dpp v25, v5 row_shr:2 row_mask:0xf bank_mask:0xf
	v_cndmask_b32_e64 v25, 0, v25, s[8:9]
	v_add_u32_e32 v5, v5, v25
	;; [unrolled: 4-line block ×4, first 2 shown]
	s_nop 1
	v_mov_b32_dpp v25, v5 row_bcast:15 row_mask:0xf bank_mask:0xf
	v_cndmask_b32_e64 v25, v25, 0, s[0:1]
	v_add_u32_e32 v5, v5, v25
	s_nop 1
	v_mov_b32_dpp v25, v5 row_bcast:31 row_mask:0xf bank_mask:0xf
	v_cndmask_b32_e64 v25, 0, v25, s[16:17]
	v_add_u32_e32 v25, v5, v25
	s_and_saveexec_b64 s[22:23], vcc
	s_cbranch_execz .LBB28_44
; %bb.43:
	ds_write_b32 v19, v25 offset:8160
.LBB28_44:
	s_or_b64 exec, exec, s[22:23]
	s_waitcnt lgkmcnt(0)
	s_barrier
	s_and_saveexec_b64 s[22:23], s[14:15]
	s_cbranch_execz .LBB28_46
; %bb.45:
	ds_read_b32 v5, v16 offset:8160
	s_waitcnt lgkmcnt(0)
	s_nop 0
	v_mov_b32_dpp v26, v5 row_shr:1 row_mask:0xf bank_mask:0xf
	v_cndmask_b32_e64 v26, v26, 0, s[4:5]
	v_add_u32_e32 v5, v26, v5
	s_nop 1
	v_mov_b32_dpp v26, v5 row_shr:2 row_mask:0xf bank_mask:0xf
	v_cndmask_b32_e64 v26, 0, v26, s[2:3]
	v_add_u32_e32 v5, v5, v26
	ds_write_b32 v16, v5 offset:8160
.LBB28_46:
	s_or_b64 exec, exec, s[22:23]
	v_mov_b32_e32 v5, 0
	v_mov_b32_e32 v26, 0
	s_waitcnt lgkmcnt(0)
	s_barrier
	s_and_saveexec_b64 s[22:23], s[18:19]
	s_cbranch_execz .LBB28_48
; %bb.47:
	ds_read_b32 v26, v19 offset:8156
.LBB28_48:
	s_or_b64 exec, exec, s[22:23]
	s_waitcnt lgkmcnt(0)
	v_add_u32_e32 v25, v26, v25
	ds_bpermute_b32 v25, v22, v25
	ds_read_b32 v27, v5 offset:8172
	v_mov_b32_e32 v28, 8
	v_lshlrev_b16_sdwa v28, v28, v21 dst_sel:DWORD dst_unused:UNUSED_PAD src0_sel:DWORD src1_sel:BYTE_1
	v_or_b32_sdwa v21, v28, v21 dst_sel:DWORD dst_unused:UNUSED_PAD src0_sel:DWORD src1_sel:BYTE_0
	s_waitcnt lgkmcnt(1)
	v_cndmask_b32_e64 v25, v25, v26, s[20:21]
	s_waitcnt lgkmcnt(0)
	v_lshl_add_u32 v26, v27, 16, v25
	v_add_u32_e32 v27, v26, v6
	v_add_u32_e32 v6, v27, v7
	;; [unrolled: 1-line block ×7, first 2 shown]
	ds_write2_b64 v15, v[26:27], v[6:7] offset1:1
	ds_write2_b64 v15, v[8:9], v[2:3] offset0:2 offset1:3
	s_waitcnt lgkmcnt(0)
	s_barrier
	ds_read_u16 v2, v23
	v_and_b32_e32 v3, 0xffff, v24
	s_waitcnt lgkmcnt(0)
	s_barrier
	v_add_lshl_u32 v2, v2, v3, 1
	ds_write_b16 v2, v21
	v_add_u32_e32 v2, v2, v2
	s_waitcnt lgkmcnt(0)
	s_barrier
	ds_read_u16 v21, v17
	s_waitcnt lgkmcnt(0)
	s_barrier
	ds_write_b32 v2, v20
	s_waitcnt lgkmcnt(0)
	s_barrier
	ds_read_b32 v20, v16
	s_mov_b32 s30, 0
	s_mov_b64 s[26:27], 0
	v_mov_b32_e32 v2, v16
	s_waitcnt lgkmcnt(0)
	s_barrier
	s_branch .LBB28_50
.LBB28_49:                              ;   in Loop: Header=BB28_50 Depth=1
	s_or_b64 exec, exec, s[24:25]
	s_add_i32 s30, s30, 2
	v_cmp_eq_u32_e64 s[22:23], s30, v18
	s_or_b64 s[26:27], s[22:23], s[26:27]
	v_add_u32_e32 v2, 0x7f8, v2
	s_andn2_b64 exec, exec, s[26:27]
	s_cbranch_execz .LBB28_54
.LBB28_50:                              ; =>This Inner Loop Header: Depth=1
	s_or_b32 s22, s30, 1
	v_cmp_le_u32_e64 s[22:23], s22, v1
	v_cmp_le_u32_e64 s[24:25], s30, v14
	s_and_saveexec_b64 s[28:29], s[24:25]
	s_cbranch_execz .LBB28_52
; %bb.51:                               ;   in Loop: Header=BB28_50 Depth=1
	ds_write_b32 v2, v5
.LBB28_52:                              ;   in Loop: Header=BB28_50 Depth=1
	s_or_b64 exec, exec, s[28:29]
	s_and_saveexec_b64 s[24:25], s[22:23]
	s_cbranch_execz .LBB28_49
; %bb.53:                               ;   in Loop: Header=BB28_50 Depth=1
	ds_write_b32 v2, v5 offset:1020
	s_branch .LBB28_49
.LBB28_54:
	s_or_b64 exec, exec, s[26:27]
	s_movk_i32 s22, 0xff
	v_and_b32_e32 v2, 7, v21
	v_lshrrev_b32_e32 v3, 2, v21
	v_mad_u32_u24 v2, v2, s22, v0
	v_and_b32_e32 v3, 2, v3
	v_lshl_or_b32 v23, v2, 2, v3
	ds_read_u16 v24, v23
	s_waitcnt lgkmcnt(0)
	v_add_u16_e32 v2, 1, v24
	ds_write_b16 v23, v2
	s_waitcnt lgkmcnt(0)
	s_barrier
	ds_read2_b64 v[6:9], v15 offset1:1
	ds_read2_b64 v[2:5], v15 offset0:2 offset1:3
	s_waitcnt lgkmcnt(1)
	v_add_u32_e32 v25, v7, v6
	v_add3_u32 v25, v25, v8, v9
	s_waitcnt lgkmcnt(0)
	v_add3_u32 v25, v25, v2, v3
	v_add3_u32 v5, v25, v4, v5
	s_nop 1
	v_mov_b32_dpp v25, v5 row_shr:1 row_mask:0xf bank_mask:0xf
	v_cndmask_b32_e64 v25, v25, 0, s[6:7]
	v_add_u32_e32 v5, v25, v5
	s_nop 1
	v_mov_b32_dpp v25, v5 row_shr:2 row_mask:0xf bank_mask:0xf
	v_cndmask_b32_e64 v25, 0, v25, s[8:9]
	v_add_u32_e32 v5, v5, v25
	;; [unrolled: 4-line block ×4, first 2 shown]
	s_nop 1
	v_mov_b32_dpp v25, v5 row_bcast:15 row_mask:0xf bank_mask:0xf
	v_cndmask_b32_e64 v25, v25, 0, s[0:1]
	v_add_u32_e32 v5, v5, v25
	s_nop 1
	v_mov_b32_dpp v25, v5 row_bcast:31 row_mask:0xf bank_mask:0xf
	v_cndmask_b32_e64 v25, 0, v25, s[16:17]
	v_add_u32_e32 v25, v5, v25
	s_and_saveexec_b64 s[22:23], vcc
	s_cbranch_execz .LBB28_56
; %bb.55:
	ds_write_b32 v19, v25 offset:8160
.LBB28_56:
	s_or_b64 exec, exec, s[22:23]
	s_waitcnt lgkmcnt(0)
	s_barrier
	s_and_saveexec_b64 s[22:23], s[14:15]
	s_cbranch_execz .LBB28_58
; %bb.57:
	ds_read_b32 v5, v16 offset:8160
	s_waitcnt lgkmcnt(0)
	s_nop 0
	v_mov_b32_dpp v26, v5 row_shr:1 row_mask:0xf bank_mask:0xf
	v_cndmask_b32_e64 v26, v26, 0, s[4:5]
	v_add_u32_e32 v5, v26, v5
	s_nop 1
	v_mov_b32_dpp v26, v5 row_shr:2 row_mask:0xf bank_mask:0xf
	v_cndmask_b32_e64 v26, 0, v26, s[2:3]
	v_add_u32_e32 v5, v5, v26
	ds_write_b32 v16, v5 offset:8160
.LBB28_58:
	s_or_b64 exec, exec, s[22:23]
	v_mov_b32_e32 v5, 0
	v_mov_b32_e32 v26, 0
	s_waitcnt lgkmcnt(0)
	s_barrier
	s_and_saveexec_b64 s[22:23], s[18:19]
	s_cbranch_execz .LBB28_60
; %bb.59:
	ds_read_b32 v26, v19 offset:8156
.LBB28_60:
	s_or_b64 exec, exec, s[22:23]
	s_waitcnt lgkmcnt(0)
	v_add_u32_e32 v25, v26, v25
	ds_bpermute_b32 v25, v22, v25
	ds_read_b32 v27, v5 offset:8172
	v_and_b32_e32 v28, 0xffffff00, v21
	v_or_b32_sdwa v21, v28, v21 dst_sel:DWORD dst_unused:UNUSED_PAD src0_sel:DWORD src1_sel:BYTE_0
	s_mov_b32 s30, 0
	s_waitcnt lgkmcnt(1)
	v_cndmask_b32_e64 v25, v25, v26, s[20:21]
	s_waitcnt lgkmcnt(0)
	v_lshl_add_u32 v26, v27, 16, v25
	v_add_u32_e32 v27, v26, v6
	v_add_u32_e32 v6, v27, v7
	;; [unrolled: 1-line block ×7, first 2 shown]
	ds_write2_b64 v15, v[26:27], v[6:7] offset1:1
	ds_write2_b64 v15, v[8:9], v[2:3] offset0:2 offset1:3
	s_waitcnt lgkmcnt(0)
	s_barrier
	ds_read_u16 v2, v23
	v_and_b32_e32 v3, 0xffff, v24
	s_waitcnt lgkmcnt(0)
	s_barrier
	v_add_lshl_u32 v2, v2, v3, 1
	ds_write_b16 v2, v21
	v_add_u32_e32 v2, v2, v2
	s_waitcnt lgkmcnt(0)
	s_barrier
	ds_read_u16 v9, v17
	s_waitcnt lgkmcnt(0)
	s_barrier
	ds_write_b32 v2, v20
	s_waitcnt lgkmcnt(0)
	s_barrier
	ds_read_b32 v8, v16
	s_mov_b64 s[26:27], 0
	v_mov_b32_e32 v2, v16
	s_waitcnt lgkmcnt(0)
	s_barrier
	s_branch .LBB28_62
.LBB28_61:                              ;   in Loop: Header=BB28_62 Depth=1
	s_or_b64 exec, exec, s[24:25]
	s_add_i32 s30, s30, 2
	v_cmp_eq_u32_e64 s[22:23], s30, v18
	s_or_b64 s[26:27], s[22:23], s[26:27]
	v_add_u32_e32 v2, 0x7f8, v2
	s_andn2_b64 exec, exec, s[26:27]
	s_cbranch_execz .LBB28_66
.LBB28_62:                              ; =>This Inner Loop Header: Depth=1
	s_or_b32 s22, s30, 1
	v_cmp_le_u32_e64 s[22:23], s22, v1
	v_cmp_le_u32_e64 s[24:25], s30, v14
	s_and_saveexec_b64 s[28:29], s[24:25]
	s_cbranch_execz .LBB28_64
; %bb.63:                               ;   in Loop: Header=BB28_62 Depth=1
	ds_write_b32 v2, v5
.LBB28_64:                              ;   in Loop: Header=BB28_62 Depth=1
	s_or_b64 exec, exec, s[28:29]
	s_and_saveexec_b64 s[24:25], s[22:23]
	s_cbranch_execz .LBB28_61
; %bb.65:                               ;   in Loop: Header=BB28_62 Depth=1
	ds_write_b32 v2, v5 offset:1020
	s_branch .LBB28_61
.LBB28_66:
	s_or_b64 exec, exec, s[26:27]
	v_mov_b32_e32 v1, 4
	v_lshrrev_b16_sdwa v1, v1, v9 dst_sel:DWORD dst_unused:UNUSED_PAD src0_sel:DWORD src1_sel:BYTE_0
	s_movk_i32 s22, 0xff
	v_and_b32_e32 v2, 7, v1
	v_lshrrev_b32_e32 v1, 2, v1
	v_mad_u32_u24 v0, v2, s22, v0
	v_and_b32_e32 v1, 2, v1
	v_lshl_or_b32 v14, v0, 2, v1
	ds_read_u16 v18, v14
	s_waitcnt lgkmcnt(0)
	v_add_u16_e32 v0, 1, v18
	ds_write_b16 v14, v0
	s_waitcnt lgkmcnt(0)
	s_barrier
	ds_read2_b64 v[4:7], v15 offset1:1
	ds_read2_b64 v[0:3], v15 offset0:2 offset1:3
	s_waitcnt lgkmcnt(1)
	v_add_u32_e32 v20, v5, v4
	v_add3_u32 v20, v20, v6, v7
	s_waitcnt lgkmcnt(0)
	v_add3_u32 v20, v20, v0, v1
	v_add3_u32 v3, v20, v2, v3
	s_nop 1
	v_mov_b32_dpp v20, v3 row_shr:1 row_mask:0xf bank_mask:0xf
	v_cndmask_b32_e64 v20, v20, 0, s[6:7]
	v_add_u32_e32 v3, v20, v3
	s_nop 1
	v_mov_b32_dpp v20, v3 row_shr:2 row_mask:0xf bank_mask:0xf
	v_cndmask_b32_e64 v20, 0, v20, s[8:9]
	v_add_u32_e32 v3, v3, v20
	;; [unrolled: 4-line block ×4, first 2 shown]
	s_nop 1
	v_mov_b32_dpp v20, v3 row_bcast:15 row_mask:0xf bank_mask:0xf
	v_cndmask_b32_e64 v20, v20, 0, s[0:1]
	v_add_u32_e32 v3, v3, v20
	s_nop 1
	v_mov_b32_dpp v20, v3 row_bcast:31 row_mask:0xf bank_mask:0xf
	v_cndmask_b32_e64 v20, 0, v20, s[16:17]
	v_add_u32_e32 v3, v3, v20
	s_and_saveexec_b64 s[0:1], vcc
	s_cbranch_execz .LBB28_68
; %bb.67:
	ds_write_b32 v19, v3 offset:8160
.LBB28_68:
	s_or_b64 exec, exec, s[0:1]
	s_waitcnt lgkmcnt(0)
	s_barrier
	s_and_saveexec_b64 s[0:1], s[14:15]
	s_cbranch_execz .LBB28_70
; %bb.69:
	ds_read_b32 v20, v16 offset:8160
	s_waitcnt lgkmcnt(0)
	s_nop 0
	v_mov_b32_dpp v21, v20 row_shr:1 row_mask:0xf bank_mask:0xf
	v_cndmask_b32_e64 v21, v21, 0, s[4:5]
	v_add_u32_e32 v20, v21, v20
	s_nop 1
	v_mov_b32_dpp v21, v20 row_shr:2 row_mask:0xf bank_mask:0xf
	v_cndmask_b32_e64 v21, 0, v21, s[2:3]
	v_add_u32_e32 v20, v20, v21
	ds_write_b32 v16, v20 offset:8160
.LBB28_70:
	s_or_b64 exec, exec, s[0:1]
	v_mov_b32_e32 v21, 0
	v_mov_b32_e32 v20, 0
	s_waitcnt lgkmcnt(0)
	s_barrier
	s_and_saveexec_b64 s[0:1], s[18:19]
	s_cbranch_execz .LBB28_72
; %bb.71:
	ds_read_b32 v20, v19 offset:8156
.LBB28_72:
	s_or_b64 exec, exec, s[0:1]
	s_waitcnt lgkmcnt(0)
	v_add_u32_e32 v3, v20, v3
	ds_bpermute_b32 v3, v22, v3
	ds_read_b32 v19, v21 offset:8172
	v_and_b32_e32 v21, 0xffffff00, v9
	v_or_b32_sdwa v9, v21, v9 dst_sel:DWORD dst_unused:UNUSED_PAD src0_sel:DWORD src1_sel:BYTE_0
	s_waitcnt lgkmcnt(1)
	v_cndmask_b32_e64 v3, v3, v20, s[20:21]
	s_waitcnt lgkmcnt(0)
	v_lshl_add_u32 v20, v19, 16, v3
	v_add_u32_e32 v21, v20, v4
	v_add_u32_e32 v4, v21, v5
	;; [unrolled: 1-line block ×7, first 2 shown]
	ds_write2_b64 v15, v[20:21], v[4:5] offset1:1
	ds_write2_b64 v15, v[6:7], v[0:1] offset0:2 offset1:3
	s_waitcnt lgkmcnt(0)
	s_barrier
	ds_read_u16 v0, v14
	v_and_b32_e32 v1, 0xffff, v18
	s_waitcnt lgkmcnt(0)
	s_barrier
	v_add_lshl_u32 v0, v0, v1, 1
	ds_write_b16 v0, v9
	s_waitcnt lgkmcnt(0)
	s_barrier
	ds_read_u16 v1, v17
	v_add_u32_e32 v0, v0, v0
	s_waitcnt lgkmcnt(0)
	s_barrier
	v_lshrrev_b16_e32 v3, 8, v1
	ds_write_b32 v0, v8
	s_waitcnt lgkmcnt(0)
	s_barrier
.LBB28_73:
	ds_read_b32 v0, v16
	v_lshlrev_b16_e32 v2, 8, v3
	v_or_b32_sdwa v1, v1, v2 dst_sel:DWORD dst_unused:UNUSED_PAD src0_sel:BYTE_0 src1_sel:DWORD
	global_store_short v[10:11], v1, off
	s_waitcnt lgkmcnt(0)
	global_store_dword v[12:13], v0, off
	s_endpgm
	.section	.rodata,"a",@progbits
	.p2align	6, 0x0
	.amdhsa_kernel _Z21sort_key_value_kernelILj255ELj1ELb1ELb0EN10test_utils16custom_test_typeIhEEfEvPT3_PT4_jj
		.amdhsa_group_segment_fixed_size 8176
		.amdhsa_private_segment_fixed_size 0
		.amdhsa_kernarg_size 24
		.amdhsa_user_sgpr_count 6
		.amdhsa_user_sgpr_private_segment_buffer 1
		.amdhsa_user_sgpr_dispatch_ptr 0
		.amdhsa_user_sgpr_queue_ptr 0
		.amdhsa_user_sgpr_kernarg_segment_ptr 1
		.amdhsa_user_sgpr_dispatch_id 0
		.amdhsa_user_sgpr_flat_scratch_init 0
		.amdhsa_user_sgpr_kernarg_preload_length 0
		.amdhsa_user_sgpr_kernarg_preload_offset 0
		.amdhsa_user_sgpr_private_segment_size 0
		.amdhsa_uses_dynamic_stack 0
		.amdhsa_system_sgpr_private_segment_wavefront_offset 0
		.amdhsa_system_sgpr_workgroup_id_x 1
		.amdhsa_system_sgpr_workgroup_id_y 0
		.amdhsa_system_sgpr_workgroup_id_z 0
		.amdhsa_system_sgpr_workgroup_info 0
		.amdhsa_system_vgpr_workitem_id 0
		.amdhsa_next_free_vgpr 34
		.amdhsa_next_free_sgpr 38
		.amdhsa_accum_offset 36
		.amdhsa_reserve_vcc 1
		.amdhsa_reserve_flat_scratch 0
		.amdhsa_float_round_mode_32 0
		.amdhsa_float_round_mode_16_64 0
		.amdhsa_float_denorm_mode_32 3
		.amdhsa_float_denorm_mode_16_64 3
		.amdhsa_dx10_clamp 1
		.amdhsa_ieee_mode 1
		.amdhsa_fp16_overflow 0
		.amdhsa_tg_split 0
		.amdhsa_exception_fp_ieee_invalid_op 0
		.amdhsa_exception_fp_denorm_src 0
		.amdhsa_exception_fp_ieee_div_zero 0
		.amdhsa_exception_fp_ieee_overflow 0
		.amdhsa_exception_fp_ieee_underflow 0
		.amdhsa_exception_fp_ieee_inexact 0
		.amdhsa_exception_int_div_zero 0
	.end_amdhsa_kernel
	.section	.text._Z21sort_key_value_kernelILj255ELj1ELb1ELb0EN10test_utils16custom_test_typeIhEEfEvPT3_PT4_jj,"axG",@progbits,_Z21sort_key_value_kernelILj255ELj1ELb1ELb0EN10test_utils16custom_test_typeIhEEfEvPT3_PT4_jj,comdat
.Lfunc_end28:
	.size	_Z21sort_key_value_kernelILj255ELj1ELb1ELb0EN10test_utils16custom_test_typeIhEEfEvPT3_PT4_jj, .Lfunc_end28-_Z21sort_key_value_kernelILj255ELj1ELb1ELb0EN10test_utils16custom_test_typeIhEEfEvPT3_PT4_jj
                                        ; -- End function
	.section	.AMDGPU.csdata,"",@progbits
; Kernel info:
; codeLenInByte = 4616
; NumSgprs: 42
; NumVgprs: 34
; NumAgprs: 0
; TotalNumVgprs: 34
; ScratchSize: 0
; MemoryBound: 0
; FloatMode: 240
; IeeeMode: 1
; LDSByteSize: 8176 bytes/workgroup (compile time only)
; SGPRBlocks: 5
; VGPRBlocks: 4
; NumSGPRsForWavesPerEU: 42
; NumVGPRsForWavesPerEU: 34
; AccumOffset: 36
; Occupancy: 8
; WaveLimiterHint : 0
; COMPUTE_PGM_RSRC2:SCRATCH_EN: 0
; COMPUTE_PGM_RSRC2:USER_SGPR: 6
; COMPUTE_PGM_RSRC2:TRAP_HANDLER: 0
; COMPUTE_PGM_RSRC2:TGID_X_EN: 1
; COMPUTE_PGM_RSRC2:TGID_Y_EN: 0
; COMPUTE_PGM_RSRC2:TGID_Z_EN: 0
; COMPUTE_PGM_RSRC2:TIDIG_COMP_CNT: 0
; COMPUTE_PGM_RSRC3_GFX90A:ACCUM_OFFSET: 8
; COMPUTE_PGM_RSRC3_GFX90A:TG_SPLIT: 0
	.section	.text._Z21sort_key_value_kernelILj129ELj2ELb0ELb1EN10test_utils16custom_test_typeIfEEiEvPT3_PT4_jj,"axG",@progbits,_Z21sort_key_value_kernelILj129ELj2ELb0ELb1EN10test_utils16custom_test_typeIfEEiEvPT3_PT4_jj,comdat
	.protected	_Z21sort_key_value_kernelILj129ELj2ELb0ELb1EN10test_utils16custom_test_typeIfEEiEvPT3_PT4_jj ; -- Begin function _Z21sort_key_value_kernelILj129ELj2ELb0ELb1EN10test_utils16custom_test_typeIfEEiEvPT3_PT4_jj
	.globl	_Z21sort_key_value_kernelILj129ELj2ELb0ELb1EN10test_utils16custom_test_typeIfEEiEvPT3_PT4_jj
	.p2align	8
	.type	_Z21sort_key_value_kernelILj129ELj2ELb0ELb1EN10test_utils16custom_test_typeIfEEiEvPT3_PT4_jj,@function
_Z21sort_key_value_kernelILj129ELj2ELb0ELb1EN10test_utils16custom_test_typeIfEEiEvPT3_PT4_jj: ; @_Z21sort_key_value_kernelILj129ELj2ELb0ELb1EN10test_utils16custom_test_typeIfEEiEvPT3_PT4_jj
; %bb.0:
	s_load_dwordx4 s[0:3], s[4:5], 0x0
	s_load_dwordx2 s[36:37], s[4:5], 0x10
	s_mul_i32 s4, s6, 0x102
	s_mov_b32 s5, 0
	s_lshl_b64 s[6:7], s[4:5], 3
	s_waitcnt lgkmcnt(0)
	s_add_u32 s30, s0, s6
	s_addc_u32 s31, s1, s7
	v_lshlrev_b32_e32 v30, 4, v0
	global_load_dwordx4 v[2:5], v30, s[30:31]
	s_lshl_b64 s[0:1], s[4:5], 2
	s_add_u32 s34, s2, s0
	v_lshlrev_b32_e32 v31, 3, v0
	s_addc_u32 s35, s3, s1
	global_load_dwordx2 v[18:19], v31, s[34:35]
	s_movk_i32 s4, 0x387
	v_mbcnt_lo_u32_b32 v6, -1, 0
	v_mov_b32_e32 v7, 0x387
	v_cmp_gt_u32_e32 vcc, s4, v0
	s_cmp_eq_u32 s36, 0
	s_mov_b32 s9, 0x1fc07f1
	v_mbcnt_hi_u32_b32 v6, -1, v6
	v_subb_co_u32_e64 v7, s[4:5], v7, v0, vcc
	s_cselect_b64 s[26:27], -1, 0
	s_cmp_eq_u32 s37, 64
	v_add_u32_e32 v13, -1, v6
	v_and_b32_e32 v16, 64, v6
	v_mul_hi_u32 v7, v7, s9
	s_cselect_b64 s[28:29], -1, 0
	v_lshrrev_b32_e32 v9, 4, v0
	v_cmp_lt_i32_e64 s[18:19], v13, v16
	v_addc_co_u32_e32 v16, vcc, 0, v7, vcc
	s_and_b64 s[26:27], s[26:27], s[28:29]
	v_bfrev_b32_e32 v1, -2
	v_and_b32_e32 v8, 0xc0, v0
	v_and_b32_e32 v11, 15, v6
	;; [unrolled: 1-line block ×3, first 2 shown]
	v_cmp_lt_u32_e64 s[4:5], 31, v6
	v_cmp_eq_u32_e64 s[6:7], 0, v6
	v_and_b32_e32 v27, 12, v9
	v_and_b32_e32 v9, 3, v6
	v_cndmask_b32_e64 v6, v13, v6, s[18:19]
	s_and_b64 vcc, exec, s[26:27]
	v_min_u32_e32 v8, 0x41, v8
	v_lshlrev_b32_e32 v29, 2, v6
	v_add_u32_e32 v8, 63, v8
	s_movk_i32 s8, 0xffe4
	v_lshlrev_b32_e32 v26, 5, v0
	v_cmp_eq_u32_e64 s[22:23], v8, v0
	v_mul_i32_i24_e32 v10, 0xffffffe4, v0
	v_mad_i32_i24 v28, v0, s8, v26
	v_cmp_gt_u32_e64 s[0:1], 3, v0
	v_cmp_lt_u32_e64 s[2:3], 63, v0
	v_sub_u32_e32 v15, 0, v31
	v_lshl_add_u32 v14, v0, 5, v10
	v_cmp_eq_u32_e64 s[8:9], 0, v11
	v_cmp_lt_u32_e64 s[10:11], 1, v11
	v_cmp_lt_u32_e64 s[12:13], 3, v11
	;; [unrolled: 1-line block ×3, first 2 shown]
	v_cmp_eq_u32_e64 s[16:17], 0, v12
	v_cmp_eq_u32_e64 s[18:19], 0, v9
	v_cmp_lt_u32_e64 s[20:21], 1, v9
	v_mad_u32_u24 v17, v0, 12, v28
	v_lshrrev_b32_e32 v32, 1, v16
	v_cmp_lt_u32_e64 s[24:25], 5, v16
	v_mov_b32_e32 v34, s31
	v_mov_b32_e32 v33, s35
	s_waitcnt vmcnt(1)
	v_cmp_gt_i32_e64 s[26:27], 0, v2
	v_cndmask_b32_e64 v6, v1, 0, s[26:27]
	v_cmp_gt_i32_e64 s[26:27], 0, v3
	v_cndmask_b32_e64 v7, v1, 0, s[26:27]
	;; [unrolled: 2-line block ×4, first 2 shown]
	v_xor_b32_e32 v3, v7, v3
	v_xor_b32_e32 v2, v6, v2
	;; [unrolled: 1-line block ×4, first 2 shown]
	s_cbranch_vccnz .LBB29_39
; %bb.1:
	v_add_u32_e32 v6, 1, v32
	v_and_b32_e32 v7, 3, v6
	v_and_b32_e32 v35, 12, v6
	v_mov_b32_e32 v6, 0x408
	v_mov_b32_e32 v1, v16
	v_cmp_ne_u32_e64 s[26:27], 0, v7
	v_lshl_add_u32 v36, v0, 2, v6
	s_movk_i32 s31, 0x204
	v_mul_u32_u24_e32 v37, 0x204, v7
	v_mov_b32_e32 v38, 0
	s_waitcnt vmcnt(0)
	v_pk_mov_b32 v[10:11], v[18:19], v[18:19] op_sel:[0,1]
	v_pk_mov_b32 v[8:9], v[4:5], v[4:5] op_sel:[0,1]
	;; [unrolled: 1-line block ×3, first 2 shown]
	s_branch .LBB29_3
.LBB29_2:                               ;   in Loop: Header=BB29_3 Depth=1
	v_add_u32_e32 v10, v13, v39
	s_barrier
	ds_write_b64 v13, v[24:25]
	ds_write_b64 v12, v[22:23]
	s_waitcnt lgkmcnt(0)
	s_barrier
	ds_read2_b64 v[6:9], v17 offset1:1
	s_waitcnt lgkmcnt(0)
	s_barrier
	ds_write_b32 v10, v20
	v_add_u32_e32 v10, v12, v40
	ds_write_b32 v10, v21
	v_add_u32_e32 v10, v17, v15
	s_waitcnt lgkmcnt(0)
	s_barrier
	ds_read_b64 v[10:11], v10
	s_waitcnt lgkmcnt(0)
	s_barrier
	s_cbranch_execz .LBB29_38
.LBB29_3:                               ; =>This Loop Header: Depth=1
                                        ;     Child Loop BB29_6 Depth 2
                                        ;     Child Loop BB29_26 Depth 2
	v_pk_mov_b32 v[24:25], v[6:7], v[6:7] op_sel:[0,1]
	v_pk_mov_b32 v[22:23], v[8:9], v[8:9] op_sel:[0,1]
	;; [unrolled: 1-line block ×3, first 2 shown]
	v_mov_b32_e32 v9, 0
	s_and_saveexec_b64 s[38:39], s[24:25]
	s_cbranch_execz .LBB29_23
; %bb.4:                                ;   in Loop: Header=BB29_3 Depth=1
	s_mov_b32 s33, 0
	s_mov_b64 s[40:41], 0
	v_mov_b32_e32 v6, v35
	v_mov_b32_e32 v7, v36
	;; [unrolled: 1-line block ×3, first 2 shown]
	s_branch .LBB29_6
.LBB29_5:                               ;   in Loop: Header=BB29_6 Depth=2
	s_or_b64 exec, exec, s[28:29]
	v_add_u32_e32 v6, -4, v6
	s_add_i32 s28, s33, 8
	v_cmp_eq_u32_e32 vcc, 0, v6
	s_add_i32 s33, s35, 2
	v_add_u32_e32 v8, 0x1020, v8
	v_add_u32_e32 v7, 0x1020, v7
	s_or_b64 s[40:41], vcc, s[40:41]
	v_mov_b32_e32 v9, s28
	s_andn2_b64 exec, exec, s[40:41]
	s_cbranch_execz .LBB29_22
.LBB29_6:                               ;   Parent Loop BB29_3 Depth=1
                                        ; =>  This Inner Loop Header: Depth=2
	s_or_b32 s28, s33, 1
	v_cmp_le_u32_e32 vcc, s28, v1
	v_cmp_le_u32_e64 s[28:29], s33, v16
	s_and_saveexec_b64 s[42:43], s[28:29]
	s_cbranch_execz .LBB29_8
; %bb.7:                                ;   in Loop: Header=BB29_6 Depth=2
	ds_write_b32 v8, v38
.LBB29_8:                               ;   in Loop: Header=BB29_6 Depth=2
	s_or_b64 exec, exec, s[42:43]
	s_and_saveexec_b64 s[28:29], vcc
	s_cbranch_execz .LBB29_10
; %bb.9:                                ;   in Loop: Header=BB29_6 Depth=2
	ds_write_b32 v8, v38 offset:516
.LBB29_10:                              ;   in Loop: Header=BB29_6 Depth=2
	s_or_b64 exec, exec, s[28:29]
	s_add_i32 s35, s33, 2
	s_add_i32 s28, s33, 3
	v_cmp_le_u32_e32 vcc, s28, v1
	v_cmp_le_u32_e64 s[28:29], s35, v16
	s_and_saveexec_b64 s[42:43], s[28:29]
	s_cbranch_execz .LBB29_12
; %bb.11:                               ;   in Loop: Header=BB29_6 Depth=2
	ds_write_b32 v7, v38
.LBB29_12:                              ;   in Loop: Header=BB29_6 Depth=2
	s_or_b64 exec, exec, s[42:43]
	s_and_saveexec_b64 s[28:29], vcc
	s_cbranch_execz .LBB29_14
; %bb.13:                               ;   in Loop: Header=BB29_6 Depth=2
	ds_write_b32 v7, v38 offset:516
.LBB29_14:                              ;   in Loop: Header=BB29_6 Depth=2
	s_or_b64 exec, exec, s[28:29]
	s_add_i32 s44, s35, 2
	s_add_i32 s35, s35, 3
	v_cmp_le_u32_e32 vcc, s35, v1
	v_cmp_le_u32_e64 s[28:29], s44, v16
	s_and_saveexec_b64 s[42:43], s[28:29]
	s_cbranch_execz .LBB29_16
; %bb.15:                               ;   in Loop: Header=BB29_6 Depth=2
	ds_write_b32 v7, v38 offset:1032
.LBB29_16:                              ;   in Loop: Header=BB29_6 Depth=2
	s_or_b64 exec, exec, s[42:43]
	s_and_saveexec_b64 s[28:29], vcc
	s_cbranch_execz .LBB29_18
; %bb.17:                               ;   in Loop: Header=BB29_6 Depth=2
	ds_write_b32 v7, v38 offset:1548
.LBB29_18:                              ;   in Loop: Header=BB29_6 Depth=2
	s_or_b64 exec, exec, s[28:29]
	s_add_i32 s35, s44, 2
	s_add_i32 s44, s44, 3
	v_cmp_le_u32_e32 vcc, s44, v1
	v_cmp_le_u32_e64 s[28:29], s35, v16
	s_and_saveexec_b64 s[42:43], s[28:29]
	s_cbranch_execz .LBB29_20
; %bb.19:                               ;   in Loop: Header=BB29_6 Depth=2
	ds_write_b32 v7, v38 offset:2064
.LBB29_20:                              ;   in Loop: Header=BB29_6 Depth=2
	s_or_b64 exec, exec, s[42:43]
	s_and_saveexec_b64 s[28:29], vcc
	s_cbranch_execz .LBB29_5
; %bb.21:                               ;   in Loop: Header=BB29_6 Depth=2
	ds_write_b32 v7, v38 offset:2580
	s_branch .LBB29_5
.LBB29_22:                              ;   in Loop: Header=BB29_3 Depth=1
	s_or_b64 exec, exec, s[40:41]
.LBB29_23:                              ;   in Loop: Header=BB29_3 Depth=1
	s_or_b64 exec, exec, s[38:39]
	s_and_saveexec_b64 s[38:39], s[26:27]
	s_cbranch_execz .LBB29_30
; %bb.24:                               ;   in Loop: Header=BB29_3 Depth=1
	v_mad_u64_u32 v[6:7], s[28:29], v9, s31, v[14:15]
	s_mov_b64 s[40:41], 0
	v_mov_b32_e32 v7, v37
	s_branch .LBB29_26
.LBB29_25:                              ;   in Loop: Header=BB29_26 Depth=2
	s_or_b64 exec, exec, s[28:29]
	v_add_u32_e32 v7, 0xfffffdfc, v7
	v_cmp_eq_u32_e32 vcc, 0, v7
	v_add_u32_e32 v9, 2, v9
	s_or_b64 s[40:41], vcc, s[40:41]
	v_add_u32_e32 v6, 0x408, v6
	s_andn2_b64 exec, exec, s[40:41]
	s_cbranch_execz .LBB29_30
.LBB29_26:                              ;   Parent Loop BB29_3 Depth=1
                                        ; =>  This Inner Loop Header: Depth=2
	v_or_b32_e32 v8, 1, v9
	v_cmp_le_u32_e32 vcc, v8, v1
	v_cmp_le_u32_e64 s[28:29], v9, v16
	s_and_saveexec_b64 s[42:43], s[28:29]
	s_cbranch_execz .LBB29_28
; %bb.27:                               ;   in Loop: Header=BB29_26 Depth=2
	ds_write_b32 v6, v38
.LBB29_28:                              ;   in Loop: Header=BB29_26 Depth=2
	s_or_b64 exec, exec, s[42:43]
	s_and_saveexec_b64 s[28:29], vcc
	s_cbranch_execz .LBB29_25
; %bb.29:                               ;   in Loop: Header=BB29_26 Depth=2
	ds_write_b32 v6, v38 offset:516
	s_branch .LBB29_25
.LBB29_30:                              ;   in Loop: Header=BB29_3 Depth=1
	s_or_b64 exec, exec, s[38:39]
	s_sub_i32 s28, s37, s36
	s_min_u32 s35, s28, 4
	s_sub_i32 s33, 0, s36
	s_add_i32 s40, s35, s36
	s_cmp_lt_i32 s36, 32
	s_cselect_b64 s[28:29], -1, 0
	s_cmp_gt_i32 s40, 0
	s_cselect_b64 s[38:39], -1, 0
	s_and_b64 vcc, s[28:29], s[38:39]
	s_cmp_lt_i32 s36, 64
	s_cselect_b64 s[28:29], -1, 0
	s_cmp_gt_i32 s40, 32
	s_cselect_b64 s[38:39], -1, 0
	s_max_i32 s33, s33, 0
	s_and_b64 s[28:29], s[28:29], s[38:39]
	s_max_i32 s38, s36, 0
	s_add_i32 s39, s33, s36
	s_sub_i32 s39, s38, s39
	s_add_i32 s39, s39, s40
	s_min_i32 s39, s39, 32
	s_sub_i32 s39, s39, s38
	s_lshl_b32 s40, -1, s39
	s_not_b32 s40, s40
	s_cmp_lg_u32 s39, 32
	s_cselect_b32 s39, s40, -1
	s_max_i32 s41, s36, 32
	s_sub_i32 s40, 32, s36
	s_sub_i32 s41, s41, 32
	s_max_i32 s40, s40, 0
	s_add_i32 s35, s41, s35
	s_sub_i32 s35, s35, s40
	s_min_i32 s35, s35, 32
	s_sub_i32 s35, s35, s41
	s_lshl_b32 s42, -1, s35
	s_not_b32 s42, s42
	s_cmp_lg_u32 s35, 32
	s_cselect_b32 s35, s42, -1
	v_lshrrev_b32_e32 v6, s38, v25
	v_lshrrev_b32_e32 v7, s41, v24
	v_and_b32_e32 v6, s39, v6
	v_and_b32_e32 v7, s35, v7
	v_lshlrev_b32_e32 v6, s33, v6
	v_lshlrev_b32_e32 v7, s40, v7
	v_cndmask_b32_e32 v6, 0, v6, vcc
	v_cndmask_b32_e64 v7, 0, v7, s[28:29]
	v_or_b32_e32 v6, v6, v7
	v_and_b32_e32 v7, 7, v6
	v_mul_u32_u24_e32 v7, 0x81, v7
	v_lshrrev_b32_e32 v6, 3, v6
	v_add_lshl_u32 v7, v7, v0, 1
	v_add_lshl_u32 v40, v7, v6, 1
	ds_read_u16 v39, v40
	v_lshrrev_b32_e32 v7, s41, v22
	v_and_b32_e32 v7, s35, v7
	v_lshlrev_b32_e32 v7, s40, v7
	v_cndmask_b32_e64 v7, 0, v7, s[28:29]
	s_waitcnt lgkmcnt(0)
	v_add_u16_e32 v6, 1, v39
	ds_write_b16 v40, v6
	v_lshrrev_b32_e32 v6, s38, v23
	v_and_b32_e32 v6, s39, v6
	v_lshlrev_b32_e32 v6, s33, v6
	v_cndmask_b32_e32 v6, 0, v6, vcc
	v_or_b32_e32 v6, v6, v7
	v_and_b32_e32 v7, 7, v6
	v_mul_u32_u24_e32 v7, 0x81, v7
	v_lshrrev_b32_e32 v6, 3, v6
	v_add_lshl_u32 v7, v7, v0, 1
	v_add_lshl_u32 v42, v7, v6, 1
	ds_read_u16 v41, v42
	s_waitcnt lgkmcnt(0)
	v_add_u16_e32 v6, 1, v41
	ds_write_b16 v42, v6
	s_waitcnt lgkmcnt(0)
	s_barrier
	ds_read2_b64 v[10:13], v26 offset1:1
	ds_read2_b64 v[6:9], v26 offset0:2 offset1:3
	s_waitcnt lgkmcnt(1)
	v_add_u32_e32 v43, v11, v10
	v_add3_u32 v43, v43, v12, v13
	s_waitcnt lgkmcnt(0)
	v_add3_u32 v43, v43, v6, v7
	v_add3_u32 v9, v43, v8, v9
	s_nop 1
	v_mov_b32_dpp v43, v9 row_shr:1 row_mask:0xf bank_mask:0xf
	v_cndmask_b32_e64 v43, v43, 0, s[8:9]
	v_add_u32_e32 v9, v43, v9
	s_nop 1
	v_mov_b32_dpp v43, v9 row_shr:2 row_mask:0xf bank_mask:0xf
	v_cndmask_b32_e64 v43, 0, v43, s[10:11]
	v_add_u32_e32 v9, v9, v43
	;; [unrolled: 4-line block ×4, first 2 shown]
	s_nop 1
	v_mov_b32_dpp v43, v9 row_bcast:15 row_mask:0xf bank_mask:0xf
	v_cndmask_b32_e64 v43, v43, 0, s[16:17]
	v_add_u32_e32 v9, v9, v43
	s_nop 1
	v_mov_b32_dpp v43, v9 row_bcast:31 row_mask:0xf bank_mask:0xf
	v_cndmask_b32_e64 v43, 0, v43, s[4:5]
	v_add_u32_e32 v9, v9, v43
	s_and_saveexec_b64 s[28:29], s[22:23]
	s_cbranch_execz .LBB29_32
; %bb.31:                               ;   in Loop: Header=BB29_3 Depth=1
	ds_write_b32 v27, v9 offset:4128
.LBB29_32:                              ;   in Loop: Header=BB29_3 Depth=1
	s_or_b64 exec, exec, s[28:29]
	s_waitcnt lgkmcnt(0)
	s_barrier
	s_and_saveexec_b64 s[28:29], s[0:1]
	s_cbranch_execz .LBB29_34
; %bb.33:                               ;   in Loop: Header=BB29_3 Depth=1
	ds_read_b32 v43, v28 offset:4128
	s_waitcnt lgkmcnt(0)
	s_nop 0
	v_mov_b32_dpp v44, v43 row_shr:1 row_mask:0xf bank_mask:0xf
	v_cndmask_b32_e64 v44, v44, 0, s[18:19]
	v_add_u32_e32 v43, v44, v43
	s_nop 1
	v_mov_b32_dpp v44, v43 row_shr:2 row_mask:0xf bank_mask:0xf
	v_cndmask_b32_e64 v44, 0, v44, s[20:21]
	v_add_u32_e32 v43, v43, v44
	ds_write_b32 v28, v43 offset:4128
.LBB29_34:                              ;   in Loop: Header=BB29_3 Depth=1
	s_or_b64 exec, exec, s[28:29]
	v_mov_b32_e32 v43, 0
	s_waitcnt lgkmcnt(0)
	s_barrier
	s_and_saveexec_b64 s[28:29], s[2:3]
	s_cbranch_execz .LBB29_36
; %bb.35:                               ;   in Loop: Header=BB29_3 Depth=1
	ds_read_b32 v43, v27 offset:4124
.LBB29_36:                              ;   in Loop: Header=BB29_3 Depth=1
	s_or_b64 exec, exec, s[28:29]
	s_waitcnt lgkmcnt(0)
	v_add_u32_e32 v9, v43, v9
	ds_bpermute_b32 v9, v29, v9
	ds_read_b32 v44, v38 offset:4136
	s_add_i32 s36, s36, 4
	s_cmp_ge_u32 s36, s37
	s_waitcnt lgkmcnt(1)
	v_cndmask_b32_e64 v9, v9, v43, s[6:7]
	s_waitcnt lgkmcnt(0)
	v_lshl_add_u32 v44, v44, 16, v9
	v_add_u32_e32 v45, v44, v10
	v_add_u32_e32 v10, v45, v11
	v_add_u32_e32 v11, v10, v12
	v_add_u32_e32 v12, v11, v13
	v_add_u32_e32 v13, v12, v6
	v_add_u32_e32 v6, v13, v7
	v_add_u32_e32 v7, v6, v8
	ds_write2_b64 v26, v[44:45], v[10:11] offset1:1
	ds_write2_b64 v26, v[12:13], v[6:7] offset0:2 offset1:3
	s_waitcnt lgkmcnt(0)
	s_barrier
	ds_read_u16 v6, v40
	ds_read_u16 v7, v42
	s_waitcnt lgkmcnt(0)
	v_add_u32_sdwa v6, v6, v39 dst_sel:DWORD dst_unused:UNUSED_PAD src0_sel:DWORD src1_sel:WORD_0
	v_add_u32_sdwa v7, v7, v41 dst_sel:DWORD dst_unused:UNUSED_PAD src0_sel:DWORD src1_sel:WORD_0
	v_lshlrev_b32_e32 v13, 3, v6
	v_lshlrev_b32_e32 v6, 2, v6
	v_sub_u32_e32 v39, 0, v6
	v_lshlrev_b32_e32 v6, 2, v7
	v_lshlrev_b32_e32 v12, 3, v7
	v_sub_u32_e32 v40, 0, v6
	s_cbranch_scc0 .LBB29_2
; %bb.37:
                                        ; implicit-def: $vgpr6_vgpr7
                                        ; implicit-def: $vgpr10_vgpr11
.LBB29_38:
	s_barrier
	ds_write_b64 v13, v[24:25]
	ds_write_b64 v12, v[22:23]
	s_waitcnt lgkmcnt(0)
	s_barrier
	ds_read2_b64 v[6:9], v17 offset1:1
	v_add_u32_e32 v1, v13, v39
	s_waitcnt lgkmcnt(0)
	s_barrier
	ds_write_b32 v1, v20
	v_add_u32_e32 v1, v12, v40
	ds_write_b32 v1, v21
	s_waitcnt lgkmcnt(0)
	s_barrier
	s_mov_b64 s[24:25], 0
	s_branch .LBB29_40
.LBB29_39:
	s_mov_b64 s[24:25], -1
                                        ; implicit-def: $vgpr8_vgpr9
.LBB29_40:
	v_add_co_u32_e32 v10, vcc, s30, v30
	v_addc_co_u32_e32 v11, vcc, 0, v34, vcc
	v_add_co_u32_e32 v12, vcc, s34, v31
	v_addc_co_u32_e32 v13, vcc, 0, v33, vcc
	s_and_b64 vcc, exec, s[24:25]
	s_cbranch_vccz .LBB29_79
; %bb.41:
	v_add_u32_e32 v6, 1, v32
	v_and_b32_e32 v7, 3, v6
	v_and_b32_e32 v30, 12, v6
	v_mov_b32_e32 v6, 0x408
	v_mov_b32_e32 v1, v16
	v_cmp_lt_u32_e64 s[24:25], 5, v16
	s_mov_b32 s38, 0
	v_cmp_ne_u32_e64 s[26:27], 0, v7
	v_lshl_add_u32 v31, v0, 2, v6
	s_movk_i32 s33, 0x204
	v_mul_u32_u24_e32 v32, 0x204, v7
	v_mov_b32_e32 v33, 0
	s_branch .LBB29_43
.LBB29_42:                              ;   in Loop: Header=BB29_43 Depth=1
	v_add_u32_e32 v6, v35, v36
	s_barrier
	ds_write_b64 v35, v[24:25]
	ds_write_b64 v34, v[22:23]
	s_waitcnt lgkmcnt(0)
	s_barrier
	ds_read2_b64 v[2:5], v17 offset1:1
	s_waitcnt lgkmcnt(0)
	s_barrier
	ds_write_b32 v6, v20
	v_add_u32_e32 v6, v34, v37
	ds_write_b32 v6, v21
	v_add_u32_e32 v6, v17, v15
	s_waitcnt lgkmcnt(0)
	s_barrier
	ds_read_b64 v[18:19], v6
	s_waitcnt lgkmcnt(0)
	s_barrier
	s_mov_b32 s38, s30
	s_cbranch_execz .LBB29_78
.LBB29_43:                              ; =>This Loop Header: Depth=1
                                        ;     Child Loop BB29_46 Depth 2
                                        ;     Child Loop BB29_66 Depth 2
	v_pk_mov_b32 v[24:25], v[2:3], v[2:3] op_sel:[0,1]
	v_pk_mov_b32 v[22:23], v[4:5], v[4:5] op_sel:[0,1]
	s_waitcnt vmcnt(0)
	v_pk_mov_b32 v[20:21], v[18:19], v[18:19] op_sel:[0,1]
	v_mov_b32_e32 v5, 0
	s_and_saveexec_b64 s[30:31], s[24:25]
	s_cbranch_execz .LBB29_63
; %bb.44:                               ;   in Loop: Header=BB29_43 Depth=1
	s_mov_b32 s39, 0
	s_mov_b64 s[34:35], 0
	v_mov_b32_e32 v2, v30
	v_mov_b32_e32 v3, v31
	;; [unrolled: 1-line block ×3, first 2 shown]
	s_branch .LBB29_46
.LBB29_45:                              ;   in Loop: Header=BB29_46 Depth=2
	s_or_b64 exec, exec, s[28:29]
	v_add_u32_e32 v2, -4, v2
	s_add_i32 s28, s39, 8
	v_cmp_eq_u32_e32 vcc, 0, v2
	s_add_i32 s39, s40, 2
	v_add_u32_e32 v4, 0x1020, v4
	v_add_u32_e32 v3, 0x1020, v3
	s_or_b64 s[34:35], vcc, s[34:35]
	v_mov_b32_e32 v5, s28
	s_andn2_b64 exec, exec, s[34:35]
	s_cbranch_execz .LBB29_62
.LBB29_46:                              ;   Parent Loop BB29_43 Depth=1
                                        ; =>  This Inner Loop Header: Depth=2
	s_or_b32 s28, s39, 1
	v_cmp_le_u32_e32 vcc, s28, v1
	v_cmp_le_u32_e64 s[28:29], s39, v16
	s_and_saveexec_b64 s[36:37], s[28:29]
	s_cbranch_execz .LBB29_48
; %bb.47:                               ;   in Loop: Header=BB29_46 Depth=2
	ds_write_b32 v4, v33
.LBB29_48:                              ;   in Loop: Header=BB29_46 Depth=2
	s_or_b64 exec, exec, s[36:37]
	s_and_saveexec_b64 s[28:29], vcc
	s_cbranch_execz .LBB29_50
; %bb.49:                               ;   in Loop: Header=BB29_46 Depth=2
	ds_write_b32 v4, v33 offset:516
.LBB29_50:                              ;   in Loop: Header=BB29_46 Depth=2
	s_or_b64 exec, exec, s[28:29]
	s_add_i32 s40, s39, 2
	s_add_i32 s28, s39, 3
	v_cmp_le_u32_e32 vcc, s28, v1
	v_cmp_le_u32_e64 s[28:29], s40, v16
	s_and_saveexec_b64 s[36:37], s[28:29]
	s_cbranch_execz .LBB29_52
; %bb.51:                               ;   in Loop: Header=BB29_46 Depth=2
	ds_write_b32 v3, v33
.LBB29_52:                              ;   in Loop: Header=BB29_46 Depth=2
	s_or_b64 exec, exec, s[36:37]
	s_and_saveexec_b64 s[28:29], vcc
	s_cbranch_execz .LBB29_54
; %bb.53:                               ;   in Loop: Header=BB29_46 Depth=2
	ds_write_b32 v3, v33 offset:516
.LBB29_54:                              ;   in Loop: Header=BB29_46 Depth=2
	s_or_b64 exec, exec, s[28:29]
	s_add_i32 s41, s40, 2
	s_add_i32 s40, s40, 3
	v_cmp_le_u32_e32 vcc, s40, v1
	v_cmp_le_u32_e64 s[28:29], s41, v16
	s_and_saveexec_b64 s[36:37], s[28:29]
	s_cbranch_execz .LBB29_56
; %bb.55:                               ;   in Loop: Header=BB29_46 Depth=2
	ds_write_b32 v3, v33 offset:1032
.LBB29_56:                              ;   in Loop: Header=BB29_46 Depth=2
	s_or_b64 exec, exec, s[36:37]
	s_and_saveexec_b64 s[28:29], vcc
	s_cbranch_execz .LBB29_58
; %bb.57:                               ;   in Loop: Header=BB29_46 Depth=2
	ds_write_b32 v3, v33 offset:1548
.LBB29_58:                              ;   in Loop: Header=BB29_46 Depth=2
	s_or_b64 exec, exec, s[28:29]
	s_add_i32 s40, s41, 2
	s_add_i32 s41, s41, 3
	v_cmp_le_u32_e32 vcc, s41, v1
	v_cmp_le_u32_e64 s[28:29], s40, v16
	s_and_saveexec_b64 s[36:37], s[28:29]
	s_cbranch_execz .LBB29_60
; %bb.59:                               ;   in Loop: Header=BB29_46 Depth=2
	ds_write_b32 v3, v33 offset:2064
.LBB29_60:                              ;   in Loop: Header=BB29_46 Depth=2
	s_or_b64 exec, exec, s[36:37]
	s_and_saveexec_b64 s[28:29], vcc
	s_cbranch_execz .LBB29_45
; %bb.61:                               ;   in Loop: Header=BB29_46 Depth=2
	ds_write_b32 v3, v33 offset:2580
	s_branch .LBB29_45
.LBB29_62:                              ;   in Loop: Header=BB29_43 Depth=1
	s_or_b64 exec, exec, s[34:35]
.LBB29_63:                              ;   in Loop: Header=BB29_43 Depth=1
	s_or_b64 exec, exec, s[30:31]
	s_and_saveexec_b64 s[30:31], s[26:27]
	s_cbranch_execz .LBB29_70
; %bb.64:                               ;   in Loop: Header=BB29_43 Depth=1
	v_mad_u64_u32 v[2:3], s[28:29], v5, s33, v[14:15]
	s_mov_b64 s[34:35], 0
	v_mov_b32_e32 v3, v32
	s_branch .LBB29_66
.LBB29_65:                              ;   in Loop: Header=BB29_66 Depth=2
	s_or_b64 exec, exec, s[28:29]
	v_add_u32_e32 v3, 0xfffffdfc, v3
	v_cmp_eq_u32_e32 vcc, 0, v3
	v_add_u32_e32 v5, 2, v5
	s_or_b64 s[34:35], vcc, s[34:35]
	v_add_u32_e32 v2, 0x408, v2
	s_andn2_b64 exec, exec, s[34:35]
	s_cbranch_execz .LBB29_70
.LBB29_66:                              ;   Parent Loop BB29_43 Depth=1
                                        ; =>  This Inner Loop Header: Depth=2
	v_or_b32_e32 v4, 1, v5
	v_cmp_le_u32_e32 vcc, v4, v1
	v_cmp_le_u32_e64 s[28:29], v5, v16
	s_and_saveexec_b64 s[36:37], s[28:29]
	s_cbranch_execz .LBB29_68
; %bb.67:                               ;   in Loop: Header=BB29_66 Depth=2
	ds_write_b32 v2, v33
.LBB29_68:                              ;   in Loop: Header=BB29_66 Depth=2
	s_or_b64 exec, exec, s[36:37]
	s_and_saveexec_b64 s[28:29], vcc
	s_cbranch_execz .LBB29_65
; %bb.69:                               ;   in Loop: Header=BB29_66 Depth=2
	ds_write_b32 v2, v33 offset:516
	s_branch .LBB29_65
.LBB29_70:                              ;   in Loop: Header=BB29_43 Depth=1
	s_or_b64 exec, exec, s[30:31]
	s_add_i32 s30, s38, 4
	s_cmp_lt_u32 s38, 32
	s_cselect_b64 vcc, -1, 0
	s_cmp_gt_u32 s38, 28
	s_cselect_b64 s[28:29], -1, 0
	s_min_i32 s31, s30, 32
	s_sub_i32 s31, s31, s38
	s_lshl_b32 s34, -1, s31
	s_not_b32 s34, s34
	s_cmp_lg_u32 s31, 32
	s_cselect_b32 s31, s34, -1
	s_sub_i32 s34, 32, s38
	s_max_i32 s34, s34, 0
	s_max_i32 s35, s38, 32
	s_sub_i32 s36, s35, 32
	s_sub_i32 s35, s35, s34
	;; [unrolled: 1-line block ×3, first 2 shown]
	s_min_i32 s35, s35, 32
	s_sub_i32 s35, s35, s36
	s_lshl_b32 s37, -1, s35
	s_not_b32 s37, s37
	s_cmp_lg_u32 s35, 32
	s_cselect_b32 s35, s37, -1
	v_lshrrev_b32_e32 v3, s36, v24
	v_lshrrev_b32_e32 v2, s38, v25
	v_and_b32_e32 v3, s35, v3
	v_and_b32_e32 v2, s31, v2
	v_lshlrev_b32_e32 v3, s34, v3
	v_cndmask_b32_e32 v2, 0, v2, vcc
	v_cndmask_b32_e64 v3, 0, v3, s[28:29]
	v_or_b32_e32 v2, v2, v3
	v_and_b32_e32 v3, 7, v2
	v_mul_u32_u24_e32 v3, 0x81, v3
	v_lshrrev_b32_e32 v2, 3, v2
	v_add_lshl_u32 v3, v3, v0, 1
	v_add_lshl_u32 v19, v3, v2, 1
	ds_read_u16 v18, v19
	v_lshrrev_b32_e32 v3, s36, v22
	v_and_b32_e32 v3, s35, v3
	v_lshlrev_b32_e32 v3, s34, v3
	v_cndmask_b32_e64 v3, 0, v3, s[28:29]
	s_waitcnt lgkmcnt(0)
	v_add_u16_e32 v2, 1, v18
	ds_write_b16 v19, v2
	v_lshrrev_b32_e32 v2, s38, v23
	v_and_b32_e32 v2, s31, v2
	v_cndmask_b32_e32 v2, 0, v2, vcc
	v_or_b32_e32 v2, v2, v3
	v_and_b32_e32 v3, 7, v2
	v_mul_u32_u24_e32 v3, 0x81, v3
	v_lshrrev_b32_e32 v2, 3, v2
	v_add_lshl_u32 v3, v3, v0, 1
	v_add_lshl_u32 v35, v3, v2, 1
	ds_read_u16 v34, v35
	s_waitcnt lgkmcnt(0)
	v_add_u16_e32 v2, 1, v34
	ds_write_b16 v35, v2
	s_waitcnt lgkmcnt(0)
	s_barrier
	ds_read2_b64 v[6:9], v26 offset1:1
	ds_read2_b64 v[2:5], v26 offset0:2 offset1:3
	s_waitcnt lgkmcnt(1)
	v_add_u32_e32 v36, v7, v6
	v_add3_u32 v36, v36, v8, v9
	s_waitcnt lgkmcnt(0)
	v_add3_u32 v36, v36, v2, v3
	v_add3_u32 v5, v36, v4, v5
	s_nop 1
	v_mov_b32_dpp v36, v5 row_shr:1 row_mask:0xf bank_mask:0xf
	v_cndmask_b32_e64 v36, v36, 0, s[8:9]
	v_add_u32_e32 v5, v36, v5
	s_nop 1
	v_mov_b32_dpp v36, v5 row_shr:2 row_mask:0xf bank_mask:0xf
	v_cndmask_b32_e64 v36, 0, v36, s[10:11]
	v_add_u32_e32 v5, v5, v36
	;; [unrolled: 4-line block ×4, first 2 shown]
	s_nop 1
	v_mov_b32_dpp v36, v5 row_bcast:15 row_mask:0xf bank_mask:0xf
	v_cndmask_b32_e64 v36, v36, 0, s[16:17]
	v_add_u32_e32 v5, v5, v36
	s_nop 1
	v_mov_b32_dpp v36, v5 row_bcast:31 row_mask:0xf bank_mask:0xf
	v_cndmask_b32_e64 v36, 0, v36, s[4:5]
	v_add_u32_e32 v5, v5, v36
	s_and_saveexec_b64 s[28:29], s[22:23]
	s_cbranch_execz .LBB29_72
; %bb.71:                               ;   in Loop: Header=BB29_43 Depth=1
	ds_write_b32 v27, v5 offset:4128
.LBB29_72:                              ;   in Loop: Header=BB29_43 Depth=1
	s_or_b64 exec, exec, s[28:29]
	s_waitcnt lgkmcnt(0)
	s_barrier
	s_and_saveexec_b64 s[28:29], s[0:1]
	s_cbranch_execz .LBB29_74
; %bb.73:                               ;   in Loop: Header=BB29_43 Depth=1
	ds_read_b32 v36, v28 offset:4128
	s_waitcnt lgkmcnt(0)
	s_nop 0
	v_mov_b32_dpp v37, v36 row_shr:1 row_mask:0xf bank_mask:0xf
	v_cndmask_b32_e64 v37, v37, 0, s[18:19]
	v_add_u32_e32 v36, v37, v36
	s_nop 1
	v_mov_b32_dpp v37, v36 row_shr:2 row_mask:0xf bank_mask:0xf
	v_cndmask_b32_e64 v37, 0, v37, s[20:21]
	v_add_u32_e32 v36, v36, v37
	ds_write_b32 v28, v36 offset:4128
.LBB29_74:                              ;   in Loop: Header=BB29_43 Depth=1
	s_or_b64 exec, exec, s[28:29]
	v_mov_b32_e32 v36, 0
	s_waitcnt lgkmcnt(0)
	s_barrier
	s_and_saveexec_b64 s[28:29], s[2:3]
	s_cbranch_execz .LBB29_76
; %bb.75:                               ;   in Loop: Header=BB29_43 Depth=1
	ds_read_b32 v36, v27 offset:4124
.LBB29_76:                              ;   in Loop: Header=BB29_43 Depth=1
	s_or_b64 exec, exec, s[28:29]
	s_waitcnt lgkmcnt(0)
	v_add_u32_e32 v5, v36, v5
	ds_bpermute_b32 v5, v29, v5
	ds_read_b32 v37, v33 offset:4136
	s_cmp_gt_u32 s38, 59
	s_waitcnt lgkmcnt(1)
	v_cndmask_b32_e64 v5, v5, v36, s[6:7]
	s_waitcnt lgkmcnt(0)
	v_lshl_add_u32 v36, v37, 16, v5
	v_add_u32_e32 v37, v36, v6
	v_add_u32_e32 v6, v37, v7
	;; [unrolled: 1-line block ×7, first 2 shown]
	ds_write2_b64 v26, v[36:37], v[6:7] offset1:1
	ds_write2_b64 v26, v[8:9], v[2:3] offset0:2 offset1:3
	s_waitcnt lgkmcnt(0)
	s_barrier
	ds_read_u16 v2, v19
	ds_read_u16 v3, v35
	s_waitcnt lgkmcnt(0)
	v_add_u32_sdwa v2, v2, v18 dst_sel:DWORD dst_unused:UNUSED_PAD src0_sel:DWORD src1_sel:WORD_0
	v_add_u32_sdwa v3, v3, v34 dst_sel:DWORD dst_unused:UNUSED_PAD src0_sel:DWORD src1_sel:WORD_0
	v_lshlrev_b32_e32 v35, 3, v2
	v_lshlrev_b32_e32 v2, 2, v2
	v_sub_u32_e32 v36, 0, v2
	v_lshlrev_b32_e32 v2, 2, v3
	v_lshlrev_b32_e32 v34, 3, v3
	v_sub_u32_e32 v37, 0, v2
	s_cbranch_scc0 .LBB29_42
; %bb.77:
                                        ; implicit-def: $vgpr2_vgpr3
                                        ; implicit-def: $sgpr30
                                        ; implicit-def: $vgpr18_vgpr19
	s_mov_b32 s38, s30
.LBB29_78:
	s_barrier
	ds_write_b64 v35, v[24:25]
	ds_write_b64 v34, v[22:23]
	s_waitcnt lgkmcnt(0)
	s_barrier
	ds_read2_b64 v[6:9], v17 offset1:1
	v_add_u32_e32 v0, v35, v36
	s_waitcnt lgkmcnt(0)
	s_barrier
	ds_write_b32 v0, v20
	v_add_u32_e32 v0, v34, v37
	ds_write_b32 v0, v21
	s_waitcnt lgkmcnt(0)
	s_barrier
.LBB29_79:
	v_bfrev_b32_e32 v2, -2
	v_cmp_gt_i32_e32 vcc, 0, v6
	v_cndmask_b32_e64 v0, v2, 0, vcc
	v_cmp_gt_i32_e32 vcc, 0, v7
	v_add_u32_e32 v3, v17, v15
	v_cndmask_b32_e64 v1, v2, 0, vcc
	v_cmp_gt_i32_e32 vcc, 0, v8
	ds_read_b64 v[4:5], v3
	v_xor_b32_e32 v0, v0, v6
	v_cndmask_b32_e64 v6, v2, 0, vcc
	v_cmp_gt_i32_e32 vcc, 0, v9
	v_cndmask_b32_e64 v2, v2, 0, vcc
	v_xor_b32_e32 v1, v1, v7
	v_xor_b32_e32 v3, v2, v9
	;; [unrolled: 1-line block ×3, first 2 shown]
	global_store_dwordx4 v[10:11], v[0:3], off
	s_waitcnt lgkmcnt(0)
	global_store_dwordx2 v[12:13], v[4:5], off
	s_endpgm
	.section	.rodata,"a",@progbits
	.p2align	6, 0x0
	.amdhsa_kernel _Z21sort_key_value_kernelILj129ELj2ELb0ELb1EN10test_utils16custom_test_typeIfEEiEvPT3_PT4_jj
		.amdhsa_group_segment_fixed_size 4144
		.amdhsa_private_segment_fixed_size 0
		.amdhsa_kernarg_size 24
		.amdhsa_user_sgpr_count 6
		.amdhsa_user_sgpr_private_segment_buffer 1
		.amdhsa_user_sgpr_dispatch_ptr 0
		.amdhsa_user_sgpr_queue_ptr 0
		.amdhsa_user_sgpr_kernarg_segment_ptr 1
		.amdhsa_user_sgpr_dispatch_id 0
		.amdhsa_user_sgpr_flat_scratch_init 0
		.amdhsa_user_sgpr_kernarg_preload_length 0
		.amdhsa_user_sgpr_kernarg_preload_offset 0
		.amdhsa_user_sgpr_private_segment_size 0
		.amdhsa_uses_dynamic_stack 0
		.amdhsa_system_sgpr_private_segment_wavefront_offset 0
		.amdhsa_system_sgpr_workgroup_id_x 1
		.amdhsa_system_sgpr_workgroup_id_y 0
		.amdhsa_system_sgpr_workgroup_id_z 0
		.amdhsa_system_sgpr_workgroup_info 0
		.amdhsa_system_vgpr_workitem_id 0
		.amdhsa_next_free_vgpr 46
		.amdhsa_next_free_sgpr 45
		.amdhsa_accum_offset 48
		.amdhsa_reserve_vcc 1
		.amdhsa_reserve_flat_scratch 0
		.amdhsa_float_round_mode_32 0
		.amdhsa_float_round_mode_16_64 0
		.amdhsa_float_denorm_mode_32 3
		.amdhsa_float_denorm_mode_16_64 3
		.amdhsa_dx10_clamp 1
		.amdhsa_ieee_mode 1
		.amdhsa_fp16_overflow 0
		.amdhsa_tg_split 0
		.amdhsa_exception_fp_ieee_invalid_op 0
		.amdhsa_exception_fp_denorm_src 0
		.amdhsa_exception_fp_ieee_div_zero 0
		.amdhsa_exception_fp_ieee_overflow 0
		.amdhsa_exception_fp_ieee_underflow 0
		.amdhsa_exception_fp_ieee_inexact 0
		.amdhsa_exception_int_div_zero 0
	.end_amdhsa_kernel
	.section	.text._Z21sort_key_value_kernelILj129ELj2ELb0ELb1EN10test_utils16custom_test_typeIfEEiEvPT3_PT4_jj,"axG",@progbits,_Z21sort_key_value_kernelILj129ELj2ELb0ELb1EN10test_utils16custom_test_typeIfEEiEvPT3_PT4_jj,comdat
.Lfunc_end29:
	.size	_Z21sort_key_value_kernelILj129ELj2ELb0ELb1EN10test_utils16custom_test_typeIfEEiEvPT3_PT4_jj, .Lfunc_end29-_Z21sort_key_value_kernelILj129ELj2ELb0ELb1EN10test_utils16custom_test_typeIfEEiEvPT3_PT4_jj
                                        ; -- End function
	.section	.AMDGPU.csdata,"",@progbits
; Kernel info:
; codeLenInByte = 3760
; NumSgprs: 49
; NumVgprs: 46
; NumAgprs: 0
; TotalNumVgprs: 46
; ScratchSize: 0
; MemoryBound: 0
; FloatMode: 240
; IeeeMode: 1
; LDSByteSize: 4144 bytes/workgroup (compile time only)
; SGPRBlocks: 6
; VGPRBlocks: 5
; NumSGPRsForWavesPerEU: 49
; NumVGPRsForWavesPerEU: 46
; AccumOffset: 48
; Occupancy: 8
; WaveLimiterHint : 0
; COMPUTE_PGM_RSRC2:SCRATCH_EN: 0
; COMPUTE_PGM_RSRC2:USER_SGPR: 6
; COMPUTE_PGM_RSRC2:TRAP_HANDLER: 0
; COMPUTE_PGM_RSRC2:TGID_X_EN: 1
; COMPUTE_PGM_RSRC2:TGID_Y_EN: 0
; COMPUTE_PGM_RSRC2:TGID_Z_EN: 0
; COMPUTE_PGM_RSRC2:TIDIG_COMP_CNT: 0
; COMPUTE_PGM_RSRC3_GFX90A:ACCUM_OFFSET: 11
; COMPUTE_PGM_RSRC3_GFX90A:TG_SPLIT: 0
	.section	.text._Z21sort_key_value_kernelILj128ELj4ELb0ELb0EN10test_utils16custom_test_typeIsEEiEvPT3_PT4_jj,"axG",@progbits,_Z21sort_key_value_kernelILj128ELj4ELb0ELb0EN10test_utils16custom_test_typeIsEEiEvPT3_PT4_jj,comdat
	.protected	_Z21sort_key_value_kernelILj128ELj4ELb0ELb0EN10test_utils16custom_test_typeIsEEiEvPT3_PT4_jj ; -- Begin function _Z21sort_key_value_kernelILj128ELj4ELb0ELb0EN10test_utils16custom_test_typeIsEEiEvPT3_PT4_jj
	.globl	_Z21sort_key_value_kernelILj128ELj4ELb0ELb0EN10test_utils16custom_test_typeIsEEiEvPT3_PT4_jj
	.p2align	8
	.type	_Z21sort_key_value_kernelILj128ELj4ELb0ELb0EN10test_utils16custom_test_typeIsEEiEvPT3_PT4_jj,@function
_Z21sort_key_value_kernelILj128ELj4ELb0ELb0EN10test_utils16custom_test_typeIsEEiEvPT3_PT4_jj: ; @_Z21sort_key_value_kernelILj128ELj4ELb0ELb0EN10test_utils16custom_test_typeIsEEiEvPT3_PT4_jj
; %bb.0:
	s_load_dwordx4 s[0:3], s[4:5], 0x0
	s_load_dwordx2 s[46:47], s[4:5], 0x10
	s_mov_b32 s48, 0
	s_lshl_b32 s6, s6, 9
	s_mov_b32 s7, s48
	s_lshl_b64 s[6:7], s[6:7], 2
	v_and_b32_e32 v10, 0x3ff, v0
	s_waitcnt lgkmcnt(0)
	s_add_u32 s42, s0, s6
	s_addc_u32 s43, s1, s7
	v_lshlrev_b32_e32 v27, 4, v10
	global_load_dwordx4 v[6:9], v27, s[42:43]
	s_add_u32 s44, s2, s6
	s_addc_u32 s45, s3, s7
	global_load_dwordx4 v[2:5], v27, s[44:45]
	v_mbcnt_lo_u32_b32 v1, -1, 0
	v_mbcnt_hi_u32_b32 v17, -1, v1
	s_cmp_lg_u32 s46, 0
	v_bfe_u32 v25, v0, 10, 10
	v_bfe_u32 v26, v0, 20, 10
	v_lshrrev_b32_e32 v0, 2, v17
	v_and_b32_e32 v18, 64, v17
	s_cselect_b64 s[22:23], -1, 0
	s_cmp_lg_u32 s47, 32
	s_movk_i32 s21, 0x8000
	v_and_b32_e32 v1, 3, v17
	v_or_b32_e32 v12, v0, v18
	s_cselect_b64 s[24:25], -1, 0
	v_lshlrev_b32_e32 v16, 2, v10
	v_cmp_eq_u32_e64 s[6:7], 0, v1
	v_cmp_eq_u32_e64 s[2:3], 1, v1
	;; [unrolled: 1-line block ×4, first 2 shown]
	v_add_u32_e32 v30, 48, v0
	v_lshlrev_b32_e32 v29, 2, v12
	s_or_b64 s[22:23], s[22:23], s[24:25]
	s_mov_b32 s20, 0xffff
	v_and_b32_e32 v22, 15, v17
	v_and_b32_e32 v23, 16, v17
	v_cmp_lt_u32_e64 s[10:11], 31, v17
	v_cmp_gt_u32_e64 s[12:13], 2, v10
	v_cmp_lt_u32_e64 s[14:15], 63, v10
	v_add_u32_e32 v19, -1, v17
	v_cmp_eq_u32_e64 s[16:17], 0, v17
	v_cmp_eq_u32_e64 s[18:19], 0, v10
	v_lshrrev_b32_e32 v24, 4, v10
	v_mul_i32_i24_e32 v20, -12, v10
	v_and_b32_e32 v21, 1, v17
	v_lshlrev_b32_e32 v11, 2, v16
	v_add_u32_e32 v28, 64, v29
	v_mov_b32_e32 v36, s43
	v_mov_b32_e32 v35, s45
	s_and_b64 vcc, exec, s[22:23]
	s_waitcnt vmcnt(1)
	v_xor_b32_e32 v0, 0xffff8000, v6
	v_xor_b32_sdwa v1, v6, s21 dst_sel:WORD_1 dst_unused:UNUSED_PAD src0_sel:WORD_1 src1_sel:DWORD
	v_xor_b32_e32 v6, 0xffff8000, v7
	v_xor_b32_sdwa v7, v7, s21 dst_sel:WORD_1 dst_unused:UNUSED_PAD src0_sel:WORD_1 src1_sel:DWORD
	;; [unrolled: 2-line block ×4, first 2 shown]
	v_or_b32_sdwa v31, v1, v0 dst_sel:DWORD dst_unused:UNUSED_PAD src0_sel:DWORD src1_sel:WORD_0
	v_or_b32_sdwa v32, v7, v6 dst_sel:DWORD dst_unused:UNUSED_PAD src0_sel:DWORD src1_sel:WORD_0
	;; [unrolled: 1-line block ×4, first 2 shown]
	s_cbranch_vccz .LBB30_20
; %bb.1:
	ds_bpermute_b32 v0, v29, v31
	ds_bpermute_b32 v1, v29, v32
	;; [unrolled: 1-line block ×4, first 2 shown]
	v_xor_b32_e32 v14, 0x80, v29
	s_waitcnt lgkmcnt(3)
	v_and_b32_e32 v7, 0xffff0000, v0
	v_cndmask_b32_e64 v0, 0, v0, s[6:7]
	s_waitcnt lgkmcnt(2)
	v_and_b32_e32 v8, 0xffff0000, v1
	v_cndmask_b32_e64 v0, v0, v1, s[2:3]
	ds_bpermute_b32 v1, v29, v34
	v_cndmask_b32_e64 v7, 0, v7, s[6:7]
	v_cndmask_b32_e64 v7, v7, v8, s[2:3]
	s_waitcnt lgkmcnt(2)
	v_and_b32_e32 v8, 0xffff0000, v6
	v_cndmask_b32_e64 v0, v0, v6, s[8:9]
	ds_bpermute_b32 v6, v28, v31
	v_cndmask_b32_e64 v7, v7, v8, s[8:9]
	s_waitcnt lgkmcnt(1)
	v_and_b32_e32 v8, 0xffff0000, v1
	v_cndmask_b32_e64 v0, v0, v1, s[0:1]
	ds_bpermute_b32 v1, v28, v32
	v_cndmask_b32_e64 v7, v7, v8, s[0:1]
	s_waitcnt lgkmcnt(1)
	v_and_b32_e32 v8, 0xffff0000, v6
	v_cndmask_b32_e64 v8, 0, v8, s[6:7]
	v_cndmask_b32_e64 v6, 0, v6, s[6:7]
	s_waitcnt lgkmcnt(0)
	v_and_b32_e32 v12, 0xffff0000, v1
	v_cndmask_b32_e64 v8, v8, v12, s[2:3]
	ds_bpermute_b32 v12, v28, v34
	v_cndmask_b32_e64 v1, v6, v1, s[2:3]
	v_and_b32_e32 v6, 0xffff0000, v9
	v_cndmask_b32_e64 v6, v8, v6, s[8:9]
	v_cndmask_b32_e64 v1, v1, v9, s[8:9]
	ds_bpermute_b32 v8, v14, v31
	s_waitcnt lgkmcnt(1)
	v_and_b32_e32 v9, 0xffff0000, v12
	v_cndmask_b32_e64 v9, v6, v9, s[0:1]
	ds_bpermute_b32 v6, v14, v32
	ds_bpermute_b32 v13, v14, v33
	v_cndmask_b32_e64 v1, v1, v12, s[0:1]
	s_waitcnt lgkmcnt(2)
	v_and_b32_e32 v12, 0xffff0000, v8
	v_cndmask_b32_e64 v12, 0, v12, s[6:7]
	v_cndmask_b32_e64 v8, 0, v8, s[6:7]
	s_waitcnt lgkmcnt(1)
	v_and_b32_e32 v15, 0xffff0000, v6
	v_cndmask_b32_e64 v12, v12, v15, s[2:3]
	v_cndmask_b32_e64 v6, v8, v6, s[2:3]
	s_waitcnt lgkmcnt(0)
	v_and_b32_e32 v8, 0xffff0000, v13
	v_cndmask_b32_e64 v8, v12, v8, s[8:9]
	ds_bpermute_b32 v12, v14, v34
	v_cndmask_b32_e64 v6, v6, v13, s[8:9]
	v_and_or_b32 v13, v30, 63, v18
	v_lshlrev_b32_e32 v15, 2, v13
	ds_bpermute_b32 v13, v15, v31
	s_waitcnt lgkmcnt(1)
	v_and_b32_e32 v37, 0xffff0000, v12
	v_cndmask_b32_e64 v12, v6, v12, s[0:1]
	ds_bpermute_b32 v6, v15, v32
	v_cndmask_b32_e64 v8, v8, v37, s[0:1]
	s_waitcnt lgkmcnt(1)
	v_and_b32_e32 v37, 0xffff0000, v13
	v_cndmask_b32_e64 v37, 0, v37, s[6:7]
	ds_bpermute_b32 v38, v15, v33
	s_waitcnt lgkmcnt(1)
	v_and_b32_e32 v39, 0xffff0000, v6
	v_cndmask_b32_e64 v37, v37, v39, s[2:3]
	ds_bpermute_b32 v39, v15, v34
	v_cndmask_b32_e64 v13, 0, v13, s[6:7]
	v_cndmask_b32_e64 v6, v13, v6, s[2:3]
	s_waitcnt lgkmcnt(1)
	v_and_b32_e32 v13, 0xffff0000, v38
	v_cndmask_b32_e64 v13, v37, v13, s[8:9]
	v_cndmask_b32_e64 v6, v6, v38, s[8:9]
	s_waitcnt lgkmcnt(0)
	v_and_b32_e32 v37, 0xffff0000, v39
	v_cndmask_b32_e64 v13, v13, v37, s[0:1]
	v_cndmask_b32_e64 v37, v6, v39, s[0:1]
	v_and_or_b32 v6, v0, s20, v7
	v_and_or_b32 v7, v1, s20, v9
	s_waitcnt vmcnt(0)
	ds_bpermute_b32 v0, v29, v2
	ds_bpermute_b32 v1, v29, v3
	;; [unrolled: 1-line block ×4, first 2 shown]
	v_and_or_b32 v8, v12, s20, v8
	v_and_or_b32 v9, v37, s20, v13
	s_waitcnt lgkmcnt(2)
	v_cndmask_b32_e64 v0, v0, v1, s[2:3]
	s_waitcnt lgkmcnt(1)
	v_cndmask_b32_e64 v0, v0, v38, s[8:9]
	;; [unrolled: 2-line block ×3, first 2 shown]
	ds_bpermute_b32 v0, v28, v2
	ds_bpermute_b32 v1, v28, v3
	;; [unrolled: 1-line block ×6, first 2 shown]
	s_waitcnt lgkmcnt(4)
	v_cndmask_b32_e64 v0, v0, v1, s[2:3]
	ds_bpermute_b32 v40, v14, v4
	s_waitcnt lgkmcnt(4)
	v_cndmask_b32_e64 v0, v0, v13, s[8:9]
	s_waitcnt lgkmcnt(3)
	v_cndmask_b32_e64 v13, v0, v37, s[0:1]
	s_waitcnt lgkmcnt(1)
	v_cndmask_b32_e64 v0, v38, v39, s[2:3]
	ds_bpermute_b32 v1, v14, v5
	ds_bpermute_b32 v37, v15, v2
	;; [unrolled: 1-line block ×4, first 2 shown]
	s_waitcnt lgkmcnt(0)
	s_barrier
	s_load_dword s20, s[4:5], 0x24
	ds_bpermute_b32 v15, v15, v5
	v_cndmask_b32_e64 v0, v0, v40, s[8:9]
	v_cndmask_b32_e64 v14, v0, v1, s[0:1]
	;; [unrolled: 1-line block ×4, first 2 shown]
	s_waitcnt lgkmcnt(0)
	s_lshr_b32 s21, s20, 16
	v_cndmask_b32_e64 v15, v0, v15, s[0:1]
	s_and_b32 s20, s20, 0xffff
	v_mad_u32_u24 v0, v26, s21, v25
	v_mad_u64_u32 v[0:1], s[20:21], v0, s20, v[10:11]
	v_lshrrev_b32_e32 v38, 6, v0
	v_and_b32_e32 v0, 0x3c0, v10
	v_min_u32_e32 v0, 64, v0
	v_or_b32_e32 v0, 63, v0
	v_cmp_lt_i32_e32 vcc, v19, v18
	v_cmp_eq_u32_e64 s[30:31], v0, v10
	v_cndmask_b32_e32 v0, v19, v17, vcc
	s_movk_i32 s33, 0xf00
	v_lshlrev_b32_e32 v37, 2, v16
	v_lshlrev_b32_e32 v40, 2, v0
	v_and_b32_e32 v42, 60, v24
	v_and_or_b32 v0, v16, s33, v17
	v_cmp_eq_u32_e64 s[20:21], 0, v22
	v_cmp_lt_u32_e64 s[22:23], 1, v22
	v_cmp_lt_u32_e64 s[24:25], 3, v22
	;; [unrolled: 1-line block ×3, first 2 shown]
	v_cmp_eq_u32_e64 s[28:29], 0, v23
	v_cmp_eq_u32_e64 s[34:35], 0, v21
	v_add_u32_e32 v44, -4, v42
	v_lshlrev_b32_e32 v46, 2, v0
	s_sub_i32 s33, 0, s46
	s_sub_i32 s43, s47, s46
	s_mov_b32 s49, s48
	s_mov_b32 s50, s48
	;; [unrolled: 1-line block ×3, first 2 shown]
	v_add_u32_e32 v47, v37, v20
	v_mov_b32_e32 v0, 0
	s_branch .LBB30_3
.LBB30_2:                               ;   in Loop: Header=BB30_3 Depth=1
	s_barrier
	ds_write_b32 v1, v51
	ds_write_b32 v52, v50
	;; [unrolled: 1-line block ×4, first 2 shown]
	s_waitcnt lgkmcnt(0)
	s_barrier
	ds_read2st64_b32 v[6:7], v46 offset1:1
	ds_read2st64_b32 v[8:9], v46 offset0:2 offset1:3
	s_waitcnt lgkmcnt(0)
	s_barrier
	ds_write_b32 v1, v45
	ds_write_b32 v52, v43
	;; [unrolled: 1-line block ×4, first 2 shown]
	s_waitcnt lgkmcnt(0)
	s_barrier
	ds_read2st64_b32 v[12:13], v46 offset1:1
	ds_read2st64_b32 v[14:15], v46 offset0:2 offset1:3
	s_add_i32 s33, s33, -8
	s_add_i32 s43, s43, -8
	s_waitcnt lgkmcnt(0)
	s_barrier
	s_cbranch_execz .LBB30_19
.LBB30_3:                               ; =>This Inner Loop Header: Depth=1
	s_max_i32 s45, s46, 0
	s_add_i32 s36, s45, s33
	s_max_i32 s52, s33, 0
	s_sub_i32 s40, s36, s52
	s_min_u32 s36, s43, 8
	s_add_i32 s37, s47, s33
	s_min_u32 s41, s37, 8
	s_add_i32 s53, s36, s46
	s_cmp_lt_i32 s46, 16
	s_cselect_b64 s[36:37], -1, 0
	s_cmp_gt_i32 s53, 0
	s_cselect_b64 s[38:39], -1, 0
	s_and_b64 vcc, s[36:37], s[38:39]
	s_cmp_lt_i32 s46, 32
	s_cselect_b64 s[36:37], -1, 0
	s_cmp_gt_i32 s53, 16
	s_cselect_b64 s[38:39], -1, 0
	s_add_i32 s40, s40, s53
	s_min_i32 s40, s40, 16
	s_sub_i32 s40, s40, s45
	s_lshl_b32 s40, -1, s40
	s_max_i32 s55, s46, 16
	s_not_b32 s54, s40
	s_add_i32 s40, s33, 16
	s_add_i32 s55, s55, -16
	s_max_i32 s53, s40, 0
	s_add_i32 s40, s55, s41
	s_sub_i32 s40, s40, s53
	s_min_i32 s40, s40, 16
	s_sub_i32 s40, s40, s55
	v_mov_b32_e32 v51, v6
	v_mov_b32_e32 v50, v7
	;; [unrolled: 1-line block ×4, first 2 shown]
	v_pk_mov_b32 v[6:7], s[48:49], s[48:49] op_sel:[0,1]
	v_pk_mov_b32 v[8:9], s[50:51], s[50:51] op_sel:[0,1]
	s_lshl_b32 s40, -1, s40
	ds_write2_b64 v37, v[6:7], v[8:9] offset0:1 offset1:2
	s_not_b32 s56, s40
	v_lshrrev_b32_sdwa v1, s45, v51 dst_sel:DWORD dst_unused:UNUSED_PAD src0_sel:DWORD src1_sel:WORD_1
	v_lshrrev_b32_sdwa v6, s55, v51 dst_sel:DWORD dst_unused:UNUSED_PAD src0_sel:DWORD src1_sel:WORD_0
	v_and_b32_e32 v1, s54, v1
	v_and_b32_e32 v6, s56, v6
	v_lshlrev_b32_e32 v1, s52, v1
	v_lshlrev_b32_e32 v6, s53, v6
	s_and_b64 s[36:37], s[36:37], s[38:39]
	v_cndmask_b32_e32 v1, 0, v1, vcc
	v_cndmask_b32_e64 v6, 0, v6, s[36:37]
	v_or_b32_e32 v6, v1, v6
	v_lshl_add_u32 v1, v6, 1, v38
	v_mov_b32_e32 v45, v12
	v_lshl_add_u32 v12, v1, 2, 8
	v_and_b32_e32 v1, 1, v6
	v_add_co_u32_e64 v7, s[38:39], -1, v1
	v_addc_co_u32_e64 v8, s[38:39], 0, -1, s[38:39]
	v_cmp_ne_u32_e64 s[38:39], 0, v1
	v_xor_b32_e32 v1, s39, v8
	v_and_b32_e32 v8, exec_hi, v1
	v_lshlrev_b32_e32 v1, 30, v6
	v_xor_b32_e32 v7, s38, v7
	v_cmp_gt_i64_e64 s[38:39], 0, v[0:1]
	v_not_b32_e32 v1, v1
	v_ashrrev_i32_e32 v1, 31, v1
	v_and_b32_e32 v7, exec_lo, v7
	v_xor_b32_e32 v9, s39, v1
	v_xor_b32_e32 v1, s38, v1
	v_and_b32_e32 v7, v7, v1
	v_lshlrev_b32_e32 v1, 29, v6
	v_cmp_gt_i64_e64 s[38:39], 0, v[0:1]
	v_not_b32_e32 v1, v1
	v_ashrrev_i32_e32 v1, 31, v1
	v_and_b32_e32 v8, v8, v9
	v_xor_b32_e32 v9, s39, v1
	v_xor_b32_e32 v1, s38, v1
	v_and_b32_e32 v7, v7, v1
	v_lshlrev_b32_e32 v1, 28, v6
	v_cmp_gt_i64_e64 s[38:39], 0, v[0:1]
	v_not_b32_e32 v1, v1
	v_ashrrev_i32_e32 v1, 31, v1
	v_and_b32_e32 v8, v8, v9
	;; [unrolled: 8-line block ×5, first 2 shown]
	v_xor_b32_e32 v9, s39, v1
	v_xor_b32_e32 v1, s38, v1
	v_and_b32_e32 v8, v8, v9
	v_and_b32_e32 v9, v7, v1
	v_lshlrev_b32_e32 v1, 24, v6
	v_cmp_gt_i64_e64 s[38:39], 0, v[0:1]
	v_not_b32_e32 v1, v1
	v_ashrrev_i32_e32 v1, 31, v1
	v_xor_b32_e32 v6, s39, v1
	v_xor_b32_e32 v1, s38, v1
	v_and_b32_e32 v7, v8, v6
	v_and_b32_e32 v6, v9, v1
	v_mbcnt_lo_u32_b32 v1, v6, 0
	v_mov_b32_e32 v43, v13
	v_mbcnt_hi_u32_b32 v13, v7, v1
	v_cmp_eq_u32_e64 s[38:39], 0, v13
	v_cmp_ne_u64_e64 s[40:41], 0, v[6:7]
	v_mov_b32_e32 v39, v15
	v_mov_b32_e32 v41, v14
	s_and_b64 s[40:41], s[38:39], s[40:41]
	s_waitcnt lgkmcnt(0)
	s_barrier
	s_waitcnt lgkmcnt(0)
	; wave barrier
	s_and_saveexec_b64 s[38:39], s[40:41]
	s_cbranch_execz .LBB30_5
; %bb.4:                                ;   in Loop: Header=BB30_3 Depth=1
	v_bcnt_u32_b32 v1, v6, 0
	v_bcnt_u32_b32 v1, v7, v1
	ds_write_b32 v12, v1
.LBB30_5:                               ;   in Loop: Header=BB30_3 Depth=1
	s_or_b64 exec, exec, s[38:39]
	v_lshrrev_b32_sdwa v1, s45, v50 dst_sel:DWORD dst_unused:UNUSED_PAD src0_sel:DWORD src1_sel:WORD_1
	v_lshrrev_b32_sdwa v6, s55, v50 dst_sel:DWORD dst_unused:UNUSED_PAD src0_sel:DWORD src1_sel:WORD_0
	v_and_b32_e32 v1, s54, v1
	v_and_b32_e32 v6, s56, v6
	v_lshlrev_b32_e32 v1, s52, v1
	v_lshlrev_b32_e32 v6, s53, v6
	v_cndmask_b32_e32 v1, 0, v1, vcc
	v_cndmask_b32_e64 v6, 0, v6, s[36:37]
	v_or_b32_e32 v6, v1, v6
	v_lshlrev_b32_e32 v1, 1, v6
	v_add_lshl_u32 v1, v1, v38, 2
	; wave barrier
	v_add_u32_e32 v15, 8, v1
	ds_read_b32 v14, v1 offset:8
	v_and_b32_e32 v1, 1, v6
	v_add_co_u32_e64 v7, s[38:39], -1, v1
	v_addc_co_u32_e64 v8, s[38:39], 0, -1, s[38:39]
	v_cmp_ne_u32_e64 s[38:39], 0, v1
	v_xor_b32_e32 v1, s39, v8
	v_and_b32_e32 v8, exec_hi, v1
	v_lshlrev_b32_e32 v1, 30, v6
	v_xor_b32_e32 v7, s38, v7
	v_cmp_gt_i64_e64 s[38:39], 0, v[0:1]
	v_not_b32_e32 v1, v1
	v_ashrrev_i32_e32 v1, 31, v1
	v_and_b32_e32 v7, exec_lo, v7
	v_xor_b32_e32 v9, s39, v1
	v_xor_b32_e32 v1, s38, v1
	v_and_b32_e32 v7, v7, v1
	v_lshlrev_b32_e32 v1, 29, v6
	v_cmp_gt_i64_e64 s[38:39], 0, v[0:1]
	v_not_b32_e32 v1, v1
	v_ashrrev_i32_e32 v1, 31, v1
	v_and_b32_e32 v8, v8, v9
	v_xor_b32_e32 v9, s39, v1
	v_xor_b32_e32 v1, s38, v1
	v_and_b32_e32 v7, v7, v1
	v_lshlrev_b32_e32 v1, 28, v6
	v_cmp_gt_i64_e64 s[38:39], 0, v[0:1]
	v_not_b32_e32 v1, v1
	v_ashrrev_i32_e32 v1, 31, v1
	v_and_b32_e32 v8, v8, v9
	;; [unrolled: 8-line block ×5, first 2 shown]
	v_xor_b32_e32 v9, s39, v1
	v_xor_b32_e32 v1, s38, v1
	v_and_b32_e32 v8, v8, v9
	v_and_b32_e32 v9, v7, v1
	v_lshlrev_b32_e32 v1, 24, v6
	v_cmp_gt_i64_e64 s[38:39], 0, v[0:1]
	v_not_b32_e32 v1, v1
	v_ashrrev_i32_e32 v1, 31, v1
	v_xor_b32_e32 v6, s39, v1
	v_xor_b32_e32 v1, s38, v1
	v_and_b32_e32 v7, v8, v6
	v_and_b32_e32 v6, v9, v1
	v_mbcnt_lo_u32_b32 v1, v6, 0
	v_mbcnt_hi_u32_b32 v52, v7, v1
	v_cmp_eq_u32_e64 s[38:39], 0, v52
	v_cmp_ne_u64_e64 s[40:41], 0, v[6:7]
	s_and_b64 s[40:41], s[38:39], s[40:41]
	; wave barrier
	s_and_saveexec_b64 s[38:39], s[40:41]
	s_cbranch_execz .LBB30_7
; %bb.6:                                ;   in Loop: Header=BB30_3 Depth=1
	v_bcnt_u32_b32 v1, v6, 0
	v_bcnt_u32_b32 v1, v7, v1
	s_waitcnt lgkmcnt(0)
	v_add_u32_e32 v1, v14, v1
	ds_write_b32 v15, v1
.LBB30_7:                               ;   in Loop: Header=BB30_3 Depth=1
	s_or_b64 exec, exec, s[38:39]
	v_lshrrev_b32_sdwa v1, s45, v49 dst_sel:DWORD dst_unused:UNUSED_PAD src0_sel:DWORD src1_sel:WORD_1
	v_lshrrev_b32_sdwa v6, s55, v49 dst_sel:DWORD dst_unused:UNUSED_PAD src0_sel:DWORD src1_sel:WORD_0
	v_and_b32_e32 v1, s54, v1
	v_and_b32_e32 v6, s56, v6
	v_lshlrev_b32_e32 v1, s52, v1
	v_lshlrev_b32_e32 v6, s53, v6
	v_cndmask_b32_e32 v1, 0, v1, vcc
	v_cndmask_b32_e64 v6, 0, v6, s[36:37]
	v_or_b32_e32 v6, v1, v6
	v_lshlrev_b32_e32 v1, 1, v6
	v_add_lshl_u32 v1, v1, v38, 2
	; wave barrier
	v_add_u32_e32 v54, 8, v1
	ds_read_b32 v53, v1 offset:8
	v_and_b32_e32 v1, 1, v6
	v_add_co_u32_e64 v7, s[38:39], -1, v1
	v_addc_co_u32_e64 v8, s[38:39], 0, -1, s[38:39]
	v_cmp_ne_u32_e64 s[38:39], 0, v1
	v_xor_b32_e32 v1, s39, v8
	v_and_b32_e32 v8, exec_hi, v1
	v_lshlrev_b32_e32 v1, 30, v6
	v_xor_b32_e32 v7, s38, v7
	v_cmp_gt_i64_e64 s[38:39], 0, v[0:1]
	v_not_b32_e32 v1, v1
	v_ashrrev_i32_e32 v1, 31, v1
	v_and_b32_e32 v7, exec_lo, v7
	v_xor_b32_e32 v9, s39, v1
	v_xor_b32_e32 v1, s38, v1
	v_and_b32_e32 v7, v7, v1
	v_lshlrev_b32_e32 v1, 29, v6
	v_cmp_gt_i64_e64 s[38:39], 0, v[0:1]
	v_not_b32_e32 v1, v1
	v_ashrrev_i32_e32 v1, 31, v1
	v_and_b32_e32 v8, v8, v9
	v_xor_b32_e32 v9, s39, v1
	v_xor_b32_e32 v1, s38, v1
	v_and_b32_e32 v7, v7, v1
	v_lshlrev_b32_e32 v1, 28, v6
	v_cmp_gt_i64_e64 s[38:39], 0, v[0:1]
	v_not_b32_e32 v1, v1
	v_ashrrev_i32_e32 v1, 31, v1
	v_and_b32_e32 v8, v8, v9
	;; [unrolled: 8-line block ×5, first 2 shown]
	v_xor_b32_e32 v9, s39, v1
	v_xor_b32_e32 v1, s38, v1
	v_and_b32_e32 v8, v8, v9
	v_and_b32_e32 v9, v7, v1
	v_lshlrev_b32_e32 v1, 24, v6
	v_cmp_gt_i64_e64 s[38:39], 0, v[0:1]
	v_not_b32_e32 v1, v1
	v_ashrrev_i32_e32 v1, 31, v1
	v_xor_b32_e32 v6, s39, v1
	v_xor_b32_e32 v1, s38, v1
	v_and_b32_e32 v7, v8, v6
	v_and_b32_e32 v6, v9, v1
	v_mbcnt_lo_u32_b32 v1, v6, 0
	v_mbcnt_hi_u32_b32 v55, v7, v1
	v_cmp_eq_u32_e64 s[38:39], 0, v55
	v_cmp_ne_u64_e64 s[40:41], 0, v[6:7]
	s_and_b64 s[40:41], s[38:39], s[40:41]
	; wave barrier
	s_and_saveexec_b64 s[38:39], s[40:41]
	s_cbranch_execz .LBB30_9
; %bb.8:                                ;   in Loop: Header=BB30_3 Depth=1
	v_bcnt_u32_b32 v1, v6, 0
	v_bcnt_u32_b32 v1, v7, v1
	s_waitcnt lgkmcnt(0)
	v_add_u32_e32 v1, v53, v1
	ds_write_b32 v54, v1
.LBB30_9:                               ;   in Loop: Header=BB30_3 Depth=1
	s_or_b64 exec, exec, s[38:39]
	v_lshrrev_b32_sdwa v1, s45, v48 dst_sel:DWORD dst_unused:UNUSED_PAD src0_sel:DWORD src1_sel:WORD_1
	v_lshrrev_b32_sdwa v6, s55, v48 dst_sel:DWORD dst_unused:UNUSED_PAD src0_sel:DWORD src1_sel:WORD_0
	v_and_b32_e32 v1, s54, v1
	v_and_b32_e32 v6, s56, v6
	v_lshlrev_b32_e32 v1, s52, v1
	v_lshlrev_b32_e32 v6, s53, v6
	v_cndmask_b32_e32 v1, 0, v1, vcc
	v_cndmask_b32_e64 v6, 0, v6, s[36:37]
	v_or_b32_e32 v6, v1, v6
	v_lshlrev_b32_e32 v1, 1, v6
	v_add_lshl_u32 v1, v1, v38, 2
	; wave barrier
	v_add_u32_e32 v57, 8, v1
	ds_read_b32 v56, v1 offset:8
	v_and_b32_e32 v1, 1, v6
	v_add_co_u32_e32 v7, vcc, -1, v1
	v_addc_co_u32_e64 v8, s[36:37], 0, -1, vcc
	v_cmp_ne_u32_e32 vcc, 0, v1
	v_xor_b32_e32 v1, vcc_hi, v8
	v_and_b32_e32 v8, exec_hi, v1
	v_lshlrev_b32_e32 v1, 30, v6
	v_xor_b32_e32 v7, vcc_lo, v7
	v_cmp_gt_i64_e32 vcc, 0, v[0:1]
	v_not_b32_e32 v1, v1
	v_ashrrev_i32_e32 v1, 31, v1
	v_and_b32_e32 v7, exec_lo, v7
	v_xor_b32_e32 v9, vcc_hi, v1
	v_xor_b32_e32 v1, vcc_lo, v1
	v_and_b32_e32 v7, v7, v1
	v_lshlrev_b32_e32 v1, 29, v6
	v_cmp_gt_i64_e32 vcc, 0, v[0:1]
	v_not_b32_e32 v1, v1
	v_ashrrev_i32_e32 v1, 31, v1
	v_and_b32_e32 v8, v8, v9
	v_xor_b32_e32 v9, vcc_hi, v1
	v_xor_b32_e32 v1, vcc_lo, v1
	v_and_b32_e32 v7, v7, v1
	v_lshlrev_b32_e32 v1, 28, v6
	v_cmp_gt_i64_e32 vcc, 0, v[0:1]
	v_not_b32_e32 v1, v1
	v_ashrrev_i32_e32 v1, 31, v1
	v_and_b32_e32 v8, v8, v9
	;; [unrolled: 8-line block ×5, first 2 shown]
	v_xor_b32_e32 v9, vcc_hi, v1
	v_xor_b32_e32 v1, vcc_lo, v1
	v_and_b32_e32 v8, v8, v9
	v_and_b32_e32 v9, v7, v1
	v_lshlrev_b32_e32 v1, 24, v6
	v_cmp_gt_i64_e32 vcc, 0, v[0:1]
	v_not_b32_e32 v1, v1
	v_ashrrev_i32_e32 v1, 31, v1
	v_xor_b32_e32 v6, vcc_hi, v1
	v_xor_b32_e32 v1, vcc_lo, v1
	v_and_b32_e32 v7, v8, v6
	v_and_b32_e32 v6, v9, v1
	v_mbcnt_lo_u32_b32 v1, v6, 0
	v_mbcnt_hi_u32_b32 v58, v7, v1
	v_cmp_eq_u32_e32 vcc, 0, v58
	v_cmp_ne_u64_e64 s[36:37], 0, v[6:7]
	s_and_b64 s[38:39], vcc, s[36:37]
	; wave barrier
	s_and_saveexec_b64 s[36:37], s[38:39]
	s_cbranch_execz .LBB30_11
; %bb.10:                               ;   in Loop: Header=BB30_3 Depth=1
	v_bcnt_u32_b32 v1, v6, 0
	v_bcnt_u32_b32 v1, v7, v1
	s_waitcnt lgkmcnt(0)
	v_add_u32_e32 v1, v56, v1
	ds_write_b32 v57, v1
.LBB30_11:                              ;   in Loop: Header=BB30_3 Depth=1
	s_or_b64 exec, exec, s[36:37]
	; wave barrier
	s_waitcnt lgkmcnt(0)
	s_barrier
	ds_read2_b64 v[6:9], v37 offset0:1 offset1:2
	s_waitcnt lgkmcnt(0)
	v_add_u32_e32 v1, v7, v6
	v_add3_u32 v1, v1, v8, v9
	s_nop 1
	v_mov_b32_dpp v9, v1 row_shr:1 row_mask:0xf bank_mask:0xf
	v_cndmask_b32_e64 v9, v9, 0, s[20:21]
	v_add_u32_e32 v1, v9, v1
	s_nop 1
	v_mov_b32_dpp v9, v1 row_shr:2 row_mask:0xf bank_mask:0xf
	v_cndmask_b32_e64 v9, 0, v9, s[22:23]
	v_add_u32_e32 v1, v1, v9
	;; [unrolled: 4-line block ×4, first 2 shown]
	s_nop 1
	v_mov_b32_dpp v9, v1 row_bcast:15 row_mask:0xf bank_mask:0xf
	v_cndmask_b32_e64 v9, v9, 0, s[28:29]
	v_add_u32_e32 v1, v1, v9
	s_nop 1
	v_mov_b32_dpp v9, v1 row_bcast:31 row_mask:0xf bank_mask:0xf
	v_cndmask_b32_e64 v9, 0, v9, s[10:11]
	v_add_u32_e32 v1, v1, v9
	s_and_saveexec_b64 s[36:37], s[30:31]
	s_cbranch_execz .LBB30_13
; %bb.12:                               ;   in Loop: Header=BB30_3 Depth=1
	ds_write_b32 v42, v1
.LBB30_13:                              ;   in Loop: Header=BB30_3 Depth=1
	s_or_b64 exec, exec, s[36:37]
	s_waitcnt lgkmcnt(0)
	s_barrier
	s_and_saveexec_b64 s[36:37], s[12:13]
	s_cbranch_execz .LBB30_15
; %bb.14:                               ;   in Loop: Header=BB30_3 Depth=1
	ds_read_b32 v9, v47
	s_waitcnt lgkmcnt(0)
	s_nop 0
	v_mov_b32_dpp v59, v9 row_shr:1 row_mask:0xf bank_mask:0xf
	v_cndmask_b32_e64 v59, v59, 0, s[34:35]
	v_add_u32_e32 v9, v59, v9
	ds_write_b32 v47, v9
.LBB30_15:                              ;   in Loop: Header=BB30_3 Depth=1
	s_or_b64 exec, exec, s[36:37]
	v_mov_b32_e32 v9, 0
	s_waitcnt lgkmcnt(0)
	s_barrier
	s_and_saveexec_b64 s[36:37], s[14:15]
	s_cbranch_execz .LBB30_17
; %bb.16:                               ;   in Loop: Header=BB30_3 Depth=1
	ds_read_b32 v9, v44
.LBB30_17:                              ;   in Loop: Header=BB30_3 Depth=1
	s_or_b64 exec, exec, s[36:37]
	s_waitcnt lgkmcnt(0)
	v_add_u32_e32 v1, v9, v1
	ds_bpermute_b32 v1, v40, v1
	s_add_i32 s46, s46, 8
	s_cmp_ge_u32 s46, s47
	s_waitcnt lgkmcnt(0)
	v_cndmask_b32_e64 v1, v1, v9, s[16:17]
	v_cndmask_b32_e64 v60, v1, 0, s[18:19]
	v_add_u32_e32 v61, v60, v6
	v_add_u32_e32 v6, v61, v7
	;; [unrolled: 1-line block ×3, first 2 shown]
	ds_write2_b64 v37, v[60:61], v[6:7] offset0:1 offset1:2
	s_waitcnt lgkmcnt(0)
	s_barrier
	ds_read_b32 v1, v12
	ds_read_b32 v6, v15
	;; [unrolled: 1-line block ×4, first 2 shown]
	v_lshlrev_b32_e32 v9, 2, v13
	s_waitcnt lgkmcnt(3)
	v_lshl_add_u32 v1, v1, 2, v9
	v_lshlrev_b32_e32 v9, 2, v52
	v_lshlrev_b32_e32 v12, 2, v14
	s_waitcnt lgkmcnt(2)
	v_lshlrev_b32_e32 v6, 2, v6
	v_add3_u32 v52, v9, v12, v6
	v_lshlrev_b32_e32 v6, 2, v55
	v_lshlrev_b32_e32 v9, 2, v53
	s_waitcnt lgkmcnt(1)
	v_lshlrev_b32_e32 v7, 2, v7
	v_add3_u32 v53, v6, v9, v7
	;; [unrolled: 5-line block ×3, first 2 shown]
	s_cbranch_scc0 .LBB30_2
; %bb.18:
                                        ; implicit-def: $vgpr15
                                        ; implicit-def: $vgpr13
                                        ; implicit-def: $vgpr6
                                        ; implicit-def: $vgpr8
                                        ; implicit-def: $sgpr33
                                        ; implicit-def: $sgpr43
.LBB30_19:
	s_barrier
	ds_write_b32 v1, v51
	ds_write_b32 v52, v50
	;; [unrolled: 1-line block ×4, first 2 shown]
	s_waitcnt lgkmcnt(0)
	s_barrier
	ds_read2_b64 v[6:9], v37 offset1:1
	v_or_b32_e32 v0, 1, v16
	v_or_b32_e32 v38, 3, v16
	s_mov_b64 s[10:11], 0
	s_waitcnt lgkmcnt(0)
	s_barrier
	ds_write_b32 v1, v45
	ds_write_b32 v52, v43
	;; [unrolled: 1-line block ×4, first 2 shown]
	s_waitcnt lgkmcnt(0)
	s_barrier
	s_branch .LBB30_21
.LBB30_20:
	s_mov_b64 s[10:11], -1
                                        ; implicit-def: $vgpr8_vgpr9
                                        ; implicit-def: $vgpr38
                                        ; implicit-def: $vgpr0
                                        ; implicit-def: $vgpr37
.LBB30_21:
	v_add_co_u32_e32 v14, vcc, s42, v27
	v_addc_co_u32_e32 v15, vcc, 0, v36, vcc
	v_add_co_u32_e32 v12, vcc, s44, v27
	v_addc_co_u32_e32 v13, vcc, 0, v35, vcc
	s_and_b64 vcc, exec, s[10:11]
	s_cbranch_vccz .LBB30_55
; %bb.22:
	ds_bpermute_b32 v6, v29, v31
	ds_bpermute_b32 v8, v29, v32
	;; [unrolled: 1-line block ×4, first 2 shown]
	s_waitcnt lgkmcnt(0)
	s_barrier
	s_load_dword s4, s[4:5], 0x24
	v_and_b32_e32 v1, 0xffff0000, v6
	v_cndmask_b32_e64 v1, 0, v1, s[6:7]
	v_and_b32_e32 v7, 0xffff0000, v8
	v_cndmask_b32_e64 v1, v1, v7, s[2:3]
	;; [unrolled: 2-line block ×4, first 2 shown]
	v_xor_b32_e32 v1, 0x80, v29
	v_and_or_b32 v30, v30, 63, v18
	s_waitcnt lgkmcnt(0)
	s_lshr_b32 s5, s4, 16
	ds_bpermute_b32 v41, v1, v31
	ds_bpermute_b32 v42, v1, v32
	;; [unrolled: 1-line block ×4, first 2 shown]
	v_lshlrev_b32_e32 v55, 2, v30
	s_waitcnt vmcnt(0)
	ds_bpermute_b32 v40, v1, v2
	ds_bpermute_b32 v45, v1, v3
	ds_bpermute_b32 v46, v1, v4
	ds_bpermute_b32 v47, v1, v5
	s_and_b32 s4, s4, 0xffff
	v_mad_u32_u24 v1, v26, s5, v25
	s_mov_b32 s10, 0
	ds_bpermute_b32 v35, v28, v31
	ds_bpermute_b32 v36, v28, v32
	;; [unrolled: 1-line block ×17, first 2 shown]
	v_mad_u64_u32 v[2:3], s[4:5], v1, s4, v[10:11]
	v_mov_b32_e32 v4, 1
	v_lshrrev_b32_e32 v25, 6, v2
	s_mov_b32 s11, s10
	s_mov_b32 s4, s10
	s_mov_b32 s5, s10
	v_lshlrev_b32_sdwa v1, v4, v7 dst_sel:DWORD dst_unused:UNUSED_PAD src0_sel:DWORD src1_sel:BYTE_2
	v_pk_mov_b32 v[2:3], s[10:11], s[10:11] op_sel:[0,1]
	v_pk_mov_b32 v[56:57], s[4:5], s[4:5] op_sel:[0,1]
	v_add_lshl_u32 v26, v1, v25, 2
	v_bfe_u32 v1, v7, 16, 1
	ds_write2_b64 v11, v[2:3], v[56:57] offset0:1 offset1:2
	v_add_co_u32_e32 v2, vcc, -1, v1
	v_addc_co_u32_e64 v3, s[4:5], 0, -1, vcc
	v_cmp_ne_u32_e32 vcc, 0, v1
	v_xor_b32_e32 v1, vcc_hi, v3
	v_mov_b32_e32 v0, 0
	v_and_b32_e32 v3, exec_hi, v1
	v_lshlrev_b32_e32 v1, 14, v7
	v_xor_b32_e32 v2, vcc_lo, v2
	v_cmp_gt_i64_e32 vcc, 0, v[0:1]
	v_not_b32_e32 v1, v1
	v_ashrrev_i32_e32 v1, 31, v1
	ds_bpermute_b32 v29, v29, v5
	ds_bpermute_b32 v28, v28, v5
	;; [unrolled: 1-line block ×3, first 2 shown]
	v_and_b32_e32 v2, exec_lo, v2
	v_xor_b32_e32 v55, vcc_hi, v1
	v_xor_b32_e32 v1, vcc_lo, v1
	v_and_b32_e32 v2, v2, v1
	v_lshlrev_b32_e32 v1, 13, v7
	v_cmp_gt_i64_e32 vcc, 0, v[0:1]
	v_not_b32_e32 v1, v1
	v_ashrrev_i32_e32 v1, 31, v1
	v_and_b32_e32 v3, v3, v55
	v_xor_b32_e32 v55, vcc_hi, v1
	v_xor_b32_e32 v1, vcc_lo, v1
	v_and_b32_e32 v2, v2, v1
	v_lshlrev_b32_e32 v1, 12, v7
	v_cmp_gt_i64_e32 vcc, 0, v[0:1]
	v_not_b32_e32 v1, v1
	v_ashrrev_i32_e32 v1, 31, v1
	v_and_b32_e32 v3, v3, v55
	;; [unrolled: 8-line block ×6, first 2 shown]
	v_xor_b32_e32 v55, vcc_hi, v1
	v_xor_b32_e32 v1, vcc_lo, v1
	v_and_b32_e32 v2, v2, v1
	v_and_b32_e32 v3, v3, v55
	v_mbcnt_lo_u32_b32 v1, v2, 0
	v_mbcnt_hi_u32_b32 v55, v3, v1
	v_cmp_eq_u32_e32 vcc, 0, v55
	v_cmp_ne_u64_e64 s[4:5], 0, v[2:3]
	s_and_b64 s[10:11], vcc, s[4:5]
	s_waitcnt lgkmcnt(0)
	s_barrier
	s_waitcnt lgkmcnt(0)
	; wave barrier
	s_and_saveexec_b64 s[4:5], s[10:11]
	s_cbranch_execz .LBB30_24
; %bb.23:
	v_bcnt_u32_b32 v1, v2, 0
	v_bcnt_u32_b32 v1, v3, v1
	ds_write_b32 v26, v1 offset:8
.LBB30_24:
	s_or_b64 exec, exec, s[4:5]
	v_and_b32_e32 v1, 0xffff0000, v35
	v_cndmask_b32_e64 v1, 0, v1, s[6:7]
	v_and_b32_e32 v2, 0xffff0000, v36
	v_cndmask_b32_e64 v1, v1, v2, s[2:3]
	;; [unrolled: 2-line block ×4, first 2 shown]
	v_lshlrev_b32_sdwa v1, v4, v58 dst_sel:DWORD dst_unused:UNUSED_PAD src0_sel:DWORD src1_sel:BYTE_2
	v_add_lshl_u32 v57, v1, v25, 2
	v_bfe_u32 v1, v58, 16, 1
	v_add_co_u32_e32 v2, vcc, -1, v1
	v_addc_co_u32_e64 v3, s[4:5], 0, -1, vcc
	v_cmp_ne_u32_e32 vcc, 0, v1
	v_xor_b32_e32 v1, vcc_hi, v3
	v_and_b32_e32 v3, exec_hi, v1
	v_lshlrev_b32_e32 v1, 14, v58
	v_xor_b32_e32 v2, vcc_lo, v2
	v_cmp_gt_i64_e32 vcc, 0, v[0:1]
	v_not_b32_e32 v1, v1
	v_ashrrev_i32_e32 v1, 31, v1
	v_and_b32_e32 v2, exec_lo, v2
	v_xor_b32_e32 v4, vcc_hi, v1
	v_xor_b32_e32 v1, vcc_lo, v1
	v_and_b32_e32 v2, v2, v1
	v_lshlrev_b32_e32 v1, 13, v58
	v_cmp_gt_i64_e32 vcc, 0, v[0:1]
	v_not_b32_e32 v1, v1
	v_ashrrev_i32_e32 v1, 31, v1
	v_and_b32_e32 v3, v3, v4
	v_xor_b32_e32 v4, vcc_hi, v1
	v_xor_b32_e32 v1, vcc_lo, v1
	v_and_b32_e32 v2, v2, v1
	v_lshlrev_b32_e32 v1, 12, v58
	v_cmp_gt_i64_e32 vcc, 0, v[0:1]
	v_not_b32_e32 v1, v1
	v_ashrrev_i32_e32 v1, 31, v1
	v_and_b32_e32 v3, v3, v4
	;; [unrolled: 8-line block ×5, first 2 shown]
	v_xor_b32_e32 v4, vcc_hi, v1
	v_xor_b32_e32 v1, vcc_lo, v1
	v_and_b32_e32 v2, v2, v1
	v_lshlrev_b32_e32 v1, 8, v58
	v_cmp_gt_i64_e32 vcc, 0, v[0:1]
	v_not_b32_e32 v0, v1
	v_ashrrev_i32_e32 v0, 31, v0
	v_xor_b32_e32 v1, vcc_hi, v0
	v_xor_b32_e32 v0, vcc_lo, v0
	; wave barrier
	ds_read_b32 v56, v57 offset:8
	v_and_b32_e32 v3, v3, v4
	v_and_b32_e32 v0, v2, v0
	;; [unrolled: 1-line block ×3, first 2 shown]
	v_mbcnt_lo_u32_b32 v2, v0, 0
	v_mbcnt_hi_u32_b32 v59, v1, v2
	v_cmp_eq_u32_e32 vcc, 0, v59
	v_cmp_ne_u64_e64 s[4:5], 0, v[0:1]
	s_and_b64 s[10:11], vcc, s[4:5]
	; wave barrier
	s_and_saveexec_b64 s[4:5], s[10:11]
	s_cbranch_execz .LBB30_26
; %bb.25:
	v_bcnt_u32_b32 v0, v0, 0
	v_bcnt_u32_b32 v0, v1, v0
	s_waitcnt lgkmcnt(0)
	v_add_u32_e32 v0, v56, v0
	ds_write_b32 v57, v0 offset:8
.LBB30_26:
	s_or_b64 exec, exec, s[4:5]
	v_and_b32_e32 v1, 0xffff0000, v41
	v_cndmask_b32_e64 v1, 0, v1, s[6:7]
	v_and_b32_e32 v2, 0xffff0000, v42
	v_cndmask_b32_e64 v1, v1, v2, s[2:3]
	;; [unrolled: 2-line block ×4, first 2 shown]
	v_mov_b32_e32 v64, 1
	v_lshlrev_b32_sdwa v1, v64, v62 dst_sel:DWORD dst_unused:UNUSED_PAD src0_sel:DWORD src1_sel:BYTE_2
	v_add_lshl_u32 v61, v1, v25, 2
	v_bfe_u32 v1, v62, 16, 1
	v_add_co_u32_e32 v2, vcc, -1, v1
	v_addc_co_u32_e64 v3, s[4:5], 0, -1, vcc
	v_cmp_ne_u32_e32 vcc, 0, v1
	v_xor_b32_e32 v1, vcc_hi, v3
	v_mov_b32_e32 v0, 0
	v_and_b32_e32 v3, exec_hi, v1
	v_lshlrev_b32_e32 v1, 14, v62
	v_xor_b32_e32 v2, vcc_lo, v2
	v_cmp_gt_i64_e32 vcc, 0, v[0:1]
	v_not_b32_e32 v1, v1
	v_ashrrev_i32_e32 v1, 31, v1
	v_and_b32_e32 v2, exec_lo, v2
	v_xor_b32_e32 v63, vcc_hi, v1
	v_xor_b32_e32 v1, vcc_lo, v1
	v_and_b32_e32 v2, v2, v1
	v_lshlrev_b32_e32 v1, 13, v62
	v_cmp_gt_i64_e32 vcc, 0, v[0:1]
	v_not_b32_e32 v1, v1
	v_ashrrev_i32_e32 v1, 31, v1
	v_and_b32_e32 v3, v3, v63
	v_xor_b32_e32 v63, vcc_hi, v1
	v_xor_b32_e32 v1, vcc_lo, v1
	v_and_b32_e32 v2, v2, v1
	v_lshlrev_b32_e32 v1, 12, v62
	v_cmp_gt_i64_e32 vcc, 0, v[0:1]
	v_not_b32_e32 v1, v1
	v_ashrrev_i32_e32 v1, 31, v1
	v_and_b32_e32 v3, v3, v63
	v_xor_b32_e32 v63, vcc_hi, v1
	v_xor_b32_e32 v1, vcc_lo, v1
	v_and_b32_e32 v2, v2, v1
	v_lshlrev_b32_e32 v1, 11, v62
	v_cmp_gt_i64_e32 vcc, 0, v[0:1]
	v_not_b32_e32 v1, v1
	v_ashrrev_i32_e32 v1, 31, v1
	v_and_b32_e32 v3, v3, v63
	v_xor_b32_e32 v63, vcc_hi, v1
	v_xor_b32_e32 v1, vcc_lo, v1
	v_and_b32_e32 v2, v2, v1
	v_lshlrev_b32_e32 v1, 10, v62
	v_cmp_gt_i64_e32 vcc, 0, v[0:1]
	v_not_b32_e32 v1, v1
	v_ashrrev_i32_e32 v1, 31, v1
	v_and_b32_e32 v3, v3, v63
	v_xor_b32_e32 v63, vcc_hi, v1
	v_xor_b32_e32 v1, vcc_lo, v1
	v_and_b32_e32 v2, v2, v1
	v_lshlrev_b32_e32 v1, 9, v62
	v_cmp_gt_i64_e32 vcc, 0, v[0:1]
	v_not_b32_e32 v1, v1
	v_ashrrev_i32_e32 v1, 31, v1
	v_and_b32_e32 v3, v3, v63
	v_xor_b32_e32 v63, vcc_hi, v1
	v_xor_b32_e32 v1, vcc_lo, v1
	v_and_b32_e32 v2, v2, v1
	v_lshlrev_b32_e32 v1, 8, v62
	v_cmp_gt_i64_e32 vcc, 0, v[0:1]
	v_not_b32_e32 v1, v1
	v_ashrrev_i32_e32 v1, 31, v1
	v_and_b32_e32 v3, v3, v63
	v_xor_b32_e32 v63, vcc_hi, v1
	v_xor_b32_e32 v1, vcc_lo, v1
	; wave barrier
	ds_read_b32 v60, v61 offset:8
	v_and_b32_e32 v2, v2, v1
	v_and_b32_e32 v3, v3, v63
	v_mbcnt_lo_u32_b32 v1, v2, 0
	v_mbcnt_hi_u32_b32 v63, v3, v1
	v_cmp_eq_u32_e32 vcc, 0, v63
	v_cmp_ne_u64_e64 s[4:5], 0, v[2:3]
	v_and_b32_e32 v4, 0x3c0, v10
	s_and_b64 s[10:11], vcc, s[4:5]
	; wave barrier
	s_and_saveexec_b64 s[4:5], s[10:11]
	s_cbranch_execz .LBB30_28
; %bb.27:
	v_bcnt_u32_b32 v1, v2, 0
	v_bcnt_u32_b32 v1, v3, v1
	s_waitcnt lgkmcnt(0)
	v_add_u32_e32 v1, v60, v1
	ds_write_b32 v61, v1 offset:8
.LBB30_28:
	s_or_b64 exec, exec, s[4:5]
	v_and_b32_e32 v1, 0xffff0000, v48
	v_cndmask_b32_e64 v1, 0, v1, s[6:7]
	v_and_b32_e32 v2, 0xffff0000, v49
	v_cndmask_b32_e64 v1, v1, v2, s[2:3]
	;; [unrolled: 2-line block ×4, first 2 shown]
	v_lshlrev_b32_sdwa v1, v64, v66 dst_sel:DWORD dst_unused:UNUSED_PAD src0_sel:DWORD src1_sel:BYTE_2
	v_add_lshl_u32 v65, v1, v25, 2
	v_bfe_u32 v1, v66, 16, 1
	v_add_co_u32_e32 v2, vcc, -1, v1
	v_addc_co_u32_e64 v3, s[4:5], 0, -1, vcc
	v_cmp_ne_u32_e32 vcc, 0, v1
	v_xor_b32_e32 v1, vcc_hi, v3
	v_and_b32_e32 v3, exec_hi, v1
	v_lshlrev_b32_e32 v1, 14, v66
	v_xor_b32_e32 v2, vcc_lo, v2
	v_cmp_gt_i64_e32 vcc, 0, v[0:1]
	v_not_b32_e32 v1, v1
	v_ashrrev_i32_e32 v1, 31, v1
	v_and_b32_e32 v2, exec_lo, v2
	v_xor_b32_e32 v67, vcc_hi, v1
	v_xor_b32_e32 v1, vcc_lo, v1
	v_and_b32_e32 v2, v2, v1
	v_lshlrev_b32_e32 v1, 13, v66
	v_cmp_gt_i64_e32 vcc, 0, v[0:1]
	v_not_b32_e32 v1, v1
	v_ashrrev_i32_e32 v1, 31, v1
	v_and_b32_e32 v3, v3, v67
	v_xor_b32_e32 v67, vcc_hi, v1
	v_xor_b32_e32 v1, vcc_lo, v1
	v_and_b32_e32 v2, v2, v1
	v_lshlrev_b32_e32 v1, 12, v66
	v_cmp_gt_i64_e32 vcc, 0, v[0:1]
	v_not_b32_e32 v1, v1
	v_ashrrev_i32_e32 v1, 31, v1
	v_and_b32_e32 v3, v3, v67
	;; [unrolled: 8-line block ×5, first 2 shown]
	v_xor_b32_e32 v67, vcc_hi, v1
	v_xor_b32_e32 v1, vcc_lo, v1
	v_and_b32_e32 v2, v2, v1
	v_lshlrev_b32_e32 v1, 8, v66
	v_cmp_gt_i64_e32 vcc, 0, v[0:1]
	v_not_b32_e32 v0, v1
	v_ashrrev_i32_e32 v0, 31, v0
	v_xor_b32_e32 v1, vcc_hi, v0
	v_xor_b32_e32 v0, vcc_lo, v0
	; wave barrier
	ds_read_b32 v64, v65 offset:8
	v_and_b32_e32 v3, v3, v67
	v_and_b32_e32 v0, v2, v0
	;; [unrolled: 1-line block ×3, first 2 shown]
	v_mbcnt_lo_u32_b32 v2, v0, 0
	v_mbcnt_hi_u32_b32 v67, v1, v2
	v_cmp_eq_u32_e32 vcc, 0, v67
	v_cmp_ne_u64_e64 s[4:5], 0, v[0:1]
	v_min_u32_e32 v4, 64, v4
	s_and_b64 s[10:11], vcc, s[4:5]
	; wave barrier
	s_and_saveexec_b64 s[4:5], s[10:11]
	s_cbranch_execz .LBB30_30
; %bb.29:
	v_bcnt_u32_b32 v0, v0, 0
	v_bcnt_u32_b32 v0, v1, v0
	s_waitcnt lgkmcnt(0)
	v_add_u32_e32 v0, v64, v0
	ds_write_b32 v65, v0 offset:8
.LBB30_30:
	s_or_b64 exec, exec, s[4:5]
	; wave barrier
	s_waitcnt lgkmcnt(0)
	s_barrier
	ds_read2_b64 v[0:3], v11 offset0:1 offset1:2
	v_or_b32_e32 v4, 63, v4
	v_cmp_eq_u32_e64 s[10:11], v4, v10
	v_cmp_eq_u32_e64 s[12:13], 0, v22
	v_cmp_lt_u32_e64 s[14:15], 1, v22
	s_waitcnt lgkmcnt(0)
	v_add_u32_e32 v4, v1, v0
	v_add3_u32 v3, v4, v2, v3
	v_cmp_lt_u32_e64 s[16:17], 3, v22
	v_cmp_lt_u32_e64 s[18:19], 7, v22
	v_mov_b32_dpp v4, v3 row_shr:1 row_mask:0xf bank_mask:0xf
	v_cndmask_b32_e64 v4, v4, 0, s[12:13]
	v_add_u32_e32 v3, v4, v3
	v_bfe_i32 v68, v17, 4, 1
	v_cmp_lt_u32_e64 s[20:21], 31, v17
	v_mov_b32_dpp v4, v3 row_shr:2 row_mask:0xf bank_mask:0xf
	v_cndmask_b32_e64 v4, 0, v4, s[14:15]
	v_add_u32_e32 v3, v3, v4
	v_cmp_eq_u32_e64 s[4:5], 0, v23
	v_and_b32_e32 v23, 60, v24
	v_mov_b32_dpp v4, v3 row_shr:4 row_mask:0xf bank_mask:0xf
	v_cndmask_b32_e64 v4, 0, v4, s[16:17]
	v_add_u32_e32 v3, v3, v4
	s_nop 1
	v_mov_b32_dpp v4, v3 row_shr:8 row_mask:0xf bank_mask:0xf
	v_cndmask_b32_e64 v4, 0, v4, s[18:19]
	v_add_u32_e32 v3, v3, v4
	s_nop 1
	v_mov_b32_dpp v4, v3 row_bcast:15 row_mask:0xf bank_mask:0xf
	v_and_b32_e32 v4, v68, v4
	v_add_u32_e32 v3, v3, v4
	s_nop 1
	v_mov_b32_dpp v4, v3 row_bcast:31 row_mask:0xf bank_mask:0xf
	v_cndmask_b32_e64 v4, 0, v4, s[20:21]
	v_add_u32_e32 v3, v3, v4
	s_and_saveexec_b64 s[22:23], s[10:11]
	s_cbranch_execz .LBB30_32
; %bb.31:
	ds_write_b32 v23, v3
.LBB30_32:
	s_or_b64 exec, exec, s[22:23]
	v_cmp_gt_u32_e64 s[22:23], 2, v10
	v_cmp_eq_u32_e64 s[24:25], 0, v21
	v_add_u32_e32 v20, v11, v20
	s_waitcnt lgkmcnt(0)
	s_barrier
	s_and_saveexec_b64 s[26:27], s[22:23]
	s_cbranch_execz .LBB30_34
; %bb.33:
	ds_read_b32 v4, v20
	s_waitcnt lgkmcnt(0)
	s_nop 0
	v_mov_b32_dpp v21, v4 row_shr:1 row_mask:0xf bank_mask:0xf
	v_cndmask_b32_e64 v21, v21, 0, s[24:25]
	v_add_u32_e32 v4, v21, v4
	ds_write_b32 v20, v4
.LBB30_34:
	s_or_b64 exec, exec, s[26:27]
	v_cmp_lt_u32_e64 s[26:27], 63, v10
	v_add_u32_e32 v21, -4, v23
	v_mov_b32_e32 v4, 0
	v_mov_b32_e32 v22, 0
	s_waitcnt lgkmcnt(0)
	s_barrier
	s_and_saveexec_b64 s[28:29], s[26:27]
	s_cbranch_execz .LBB30_36
; %bb.35:
	ds_read_b32 v22, v21
.LBB30_36:
	s_or_b64 exec, exec, s[28:29]
	v_cndmask_b32_e64 v6, 0, v6, s[6:7]
	v_cndmask_b32_e64 v6, v6, v8, s[2:3]
	;; [unrolled: 1-line block ×7, first 2 shown]
	s_mov_b32 s6, 0xffff
	v_and_or_b32 v27, v6, s6, v7
	v_cndmask_b32_e64 v6, v30, v31, s[2:3]
	v_cndmask_b32_e64 v6, v6, v32, s[8:9]
	;; [unrolled: 1-line block ×4, first 2 shown]
	v_cmp_lt_i32_e32 vcc, v19, v18
	v_cndmask_b32_e64 v6, v6, v39, s[8:9]
	v_cndmask_b32_e32 v7, v19, v17, vcc
	v_cndmask_b32_e64 v28, v6, v28, s[0:1]
	v_cndmask_b32_e64 v6, v40, v45, s[2:3]
	v_lshlrev_b32_e32 v18, 2, v7
	s_waitcnt lgkmcnt(0)
	v_add_u32_e32 v3, v22, v3
	v_cndmask_b32_e64 v6, v6, v46, s[8:9]
	ds_bpermute_b32 v3, v18, v3
	v_cndmask_b32_e64 v8, v8, v36, s[2:3]
	v_cndmask_b32_e64 v9, v9, v42, s[2:3]
	;; [unrolled: 1-line block ×13, first 2 shown]
	s_movk_i32 s0, 0xf00
	v_and_or_b32 v19, v16, s0, v17
	v_cmp_eq_u32_e64 s[0:1], 0, v17
	s_waitcnt lgkmcnt(0)
	v_cndmask_b32_e64 v3, v3, v22, s[0:1]
	v_cmp_eq_u32_e64 s[2:3], 0, v10
	v_cndmask_b32_e64 v6, v3, 0, s[2:3]
	v_add_u32_e32 v7, v6, v0
	v_add_u32_e32 v0, v7, v1
	;; [unrolled: 1-line block ×3, first 2 shown]
	ds_write2_b64 v11, v[6:7], v[0:1] offset0:1 offset1:2
	s_waitcnt lgkmcnt(0)
	s_barrier
	ds_read_b32 v0, v26 offset:8
	ds_read_b32 v1, v57 offset:8
	;; [unrolled: 1-line block ×4, first 2 shown]
	v_lshlrev_b32_e32 v6, 2, v67
	v_lshlrev_b32_e32 v7, 2, v64
	s_waitcnt lgkmcnt(2)
	v_lshlrev_b32_e32 v1, 2, v1
	s_waitcnt lgkmcnt(1)
	;; [unrolled: 2-line block ×3, first 2 shown]
	v_lshlrev_b32_e32 v3, 2, v3
	v_add3_u32 v6, v6, v7, v3
	v_lshlrev_b32_e32 v3, 2, v63
	v_lshlrev_b32_e32 v7, 2, v60
	v_add3_u32 v7, v3, v7, v2
	v_lshlrev_b32_e32 v2, 2, v59
	v_lshlrev_b32_e32 v3, 2, v56
	v_add3_u32 v17, v2, v3, v1
	v_lshlrev_b32_e32 v1, 2, v55
	v_and_or_b32 v8, v8, s6, v58
	v_and_or_b32 v9, v9, s6, v62
	v_lshlrev_b32_e32 v10, 2, v19
	v_lshl_add_u32 v19, v0, 2, v1
	v_and_or_b32 v24, v24, s6, v66
	s_barrier
	ds_write_b32 v19, v27
	ds_write_b32 v17, v8
	;; [unrolled: 1-line block ×4, first 2 shown]
	s_waitcnt lgkmcnt(0)
	s_barrier
	ds_read2st64_b32 v[0:1], v10 offset1:1
	ds_read2st64_b32 v[2:3], v10 offset0:2 offset1:3
	s_waitcnt lgkmcnt(0)
	s_barrier
	ds_write_b32 v19, v29
	ds_write_b32 v17, v28
	;; [unrolled: 1-line block ×4, first 2 shown]
	s_waitcnt lgkmcnt(0)
	s_barrier
	ds_read2st64_b32 v[6:7], v10 offset1:1
	ds_read2st64_b32 v[8:9], v10 offset0:2 offset1:3
	s_mov_b32 s30, 0
	s_mov_b32 s33, 8
	;; [unrolled: 1-line block ×6, first 2 shown]
	s_waitcnt lgkmcnt(0)
	s_barrier
	s_branch .LBB30_38
.LBB30_37:                              ;   in Loop: Header=BB30_38 Depth=1
	s_barrier
	ds_write_b32 v5, v29
	ds_write_b32 v30, v28
	;; [unrolled: 1-line block ×4, first 2 shown]
	s_waitcnt lgkmcnt(0)
	s_barrier
	ds_read2st64_b32 v[0:1], v10 offset1:1
	ds_read2st64_b32 v[2:3], v10 offset0:2 offset1:3
	s_waitcnt lgkmcnt(0)
	s_barrier
	ds_write_b32 v5, v24
	ds_write_b32 v30, v22
	ds_write_b32 v31, v19
	ds_write_b32 v32, v17
	s_waitcnt lgkmcnt(0)
	s_barrier
	ds_read2st64_b32 v[6:7], v10 offset1:1
	ds_read2st64_b32 v[8:9], v10 offset0:2 offset1:3
	s_add_i32 s33, s33, -8
	s_add_i32 s36, s36, 8
	s_waitcnt lgkmcnt(0)
	s_barrier
	s_cbranch_execz .LBB30_54
.LBB30_38:                              ; =>This Inner Loop Header: Depth=1
	s_cmp_lt_u32 s36, 16
	s_cselect_b64 s[6:7], -1, 0
	s_cmp_gt_u32 s36, 8
	s_cselect_b64 vcc, -1, 0
	s_lshl_b32 s8, -1, s33
	s_not_b32 s38, s8
	s_max_i32 s37, s33, 0
	s_max_i32 s8, s36, 16
	s_add_i32 s39, s8, -16
	s_sub_i32 s8, s8, s37
	s_add_i32 s8, s8, -8
	s_min_i32 s8, s8, 16
	s_sub_i32 s8, s8, s39
	v_mov_b32_e32 v29, v0
	v_mov_b32_e32 v28, v1
	;; [unrolled: 1-line block ×4, first 2 shown]
	v_pk_mov_b32 v[0:1], s[30:31], s[30:31] op_sel:[0,1]
	v_pk_mov_b32 v[2:3], s[34:35], s[34:35] op_sel:[0,1]
	s_lshl_b32 s8, -1, s8
	ds_write2_b64 v11, v[0:1], v[2:3] offset0:1 offset1:2
	s_not_b32 s40, s8
	v_lshrrev_b32_sdwa v1, s39, v29 dst_sel:DWORD dst_unused:UNUSED_PAD src0_sel:DWORD src1_sel:WORD_0
	v_lshrrev_b32_sdwa v0, s36, v29 dst_sel:DWORD dst_unused:UNUSED_PAD src0_sel:DWORD src1_sel:WORD_1
	v_and_b32_e32 v1, s40, v1
	v_and_b32_e32 v0, s38, v0
	v_lshlrev_b32_e32 v1, s37, v1
	v_cndmask_b32_e64 v0, 0, v0, s[6:7]
	v_cndmask_b32_e32 v1, 0, v1, vcc
	v_or_b32_e32 v0, v0, v1
	v_lshl_add_u32 v1, v0, 1, v25
	v_mov_b32_e32 v24, v6
	v_lshl_add_u32 v6, v1, 2, 8
	v_and_b32_e32 v1, 1, v0
	v_add_co_u32_e64 v2, s[8:9], -1, v1
	v_addc_co_u32_e64 v3, s[8:9], 0, -1, s[8:9]
	v_cmp_ne_u32_e64 s[8:9], 0, v1
	v_lshlrev_b32_e32 v5, 30, v0
	v_xor_b32_e32 v1, s9, v3
	v_not_b32_e32 v3, v5
	v_xor_b32_e32 v2, s8, v2
	v_cmp_gt_i64_e64 s[8:9], 0, v[4:5]
	v_ashrrev_i32_e32 v3, 31, v3
	v_and_b32_e32 v1, exec_hi, v1
	v_xor_b32_e32 v5, s9, v3
	v_and_b32_e32 v2, exec_lo, v2
	v_xor_b32_e32 v3, s8, v3
	v_and_b32_e32 v1, v1, v5
	v_lshlrev_b32_e32 v5, 29, v0
	v_and_b32_e32 v2, v2, v3
	v_not_b32_e32 v3, v5
	v_cmp_gt_i64_e64 s[8:9], 0, v[4:5]
	v_ashrrev_i32_e32 v3, 31, v3
	v_xor_b32_e32 v5, s9, v3
	v_xor_b32_e32 v3, s8, v3
	v_and_b32_e32 v1, v1, v5
	v_lshlrev_b32_e32 v5, 28, v0
	v_and_b32_e32 v2, v2, v3
	v_not_b32_e32 v3, v5
	v_cmp_gt_i64_e64 s[8:9], 0, v[4:5]
	v_ashrrev_i32_e32 v3, 31, v3
	v_xor_b32_e32 v5, s9, v3
	;; [unrolled: 8-line block ×5, first 2 shown]
	v_and_b32_e32 v1, v1, v5
	v_lshlrev_b32_e32 v5, 24, v0
	v_not_b32_e32 v0, v5
	v_xor_b32_e32 v3, s8, v3
	v_cmp_gt_i64_e64 s[8:9], 0, v[4:5]
	v_ashrrev_i32_e32 v0, 31, v0
	v_and_b32_e32 v2, v2, v3
	v_xor_b32_e32 v3, s9, v0
	v_xor_b32_e32 v0, s8, v0
	v_and_b32_e32 v0, v2, v0
	v_and_b32_e32 v1, v1, v3
	v_mbcnt_lo_u32_b32 v2, v0, 0
	v_mov_b32_e32 v22, v7
	v_mbcnt_hi_u32_b32 v7, v1, v2
	v_cmp_eq_u32_e64 s[8:9], 0, v7
	v_cmp_ne_u64_e64 s[28:29], 0, v[0:1]
	v_mov_b32_e32 v17, v9
	v_mov_b32_e32 v19, v8
	s_and_b64 s[28:29], s[8:9], s[28:29]
	s_waitcnt lgkmcnt(0)
	s_barrier
	s_waitcnt lgkmcnt(0)
	; wave barrier
	s_and_saveexec_b64 s[8:9], s[28:29]
	s_cbranch_execz .LBB30_40
; %bb.39:                               ;   in Loop: Header=BB30_38 Depth=1
	v_bcnt_u32_b32 v0, v0, 0
	v_bcnt_u32_b32 v0, v1, v0
	ds_write_b32 v6, v0
.LBB30_40:                              ;   in Loop: Header=BB30_38 Depth=1
	s_or_b64 exec, exec, s[8:9]
	v_lshrrev_b32_sdwa v1, s39, v28 dst_sel:DWORD dst_unused:UNUSED_PAD src0_sel:DWORD src1_sel:WORD_0
	v_lshrrev_b32_sdwa v0, s36, v28 dst_sel:DWORD dst_unused:UNUSED_PAD src0_sel:DWORD src1_sel:WORD_1
	v_and_b32_e32 v1, s40, v1
	v_and_b32_e32 v0, s38, v0
	v_lshlrev_b32_e32 v1, s37, v1
	v_cndmask_b32_e64 v0, 0, v0, s[6:7]
	v_cndmask_b32_e32 v1, 0, v1, vcc
	v_or_b32_e32 v0, v0, v1
	v_lshlrev_b32_e32 v1, 1, v0
	v_add_lshl_u32 v1, v1, v25, 2
	; wave barrier
	v_add_u32_e32 v9, 8, v1
	ds_read_b32 v8, v1 offset:8
	v_and_b32_e32 v1, 1, v0
	v_add_co_u32_e64 v2, s[8:9], -1, v1
	v_addc_co_u32_e64 v3, s[8:9], 0, -1, s[8:9]
	v_cmp_ne_u32_e64 s[8:9], 0, v1
	v_lshlrev_b32_e32 v5, 30, v0
	v_xor_b32_e32 v1, s9, v3
	v_not_b32_e32 v3, v5
	v_xor_b32_e32 v2, s8, v2
	v_cmp_gt_i64_e64 s[8:9], 0, v[4:5]
	v_ashrrev_i32_e32 v3, 31, v3
	v_and_b32_e32 v1, exec_hi, v1
	v_xor_b32_e32 v5, s9, v3
	v_and_b32_e32 v2, exec_lo, v2
	v_xor_b32_e32 v3, s8, v3
	v_and_b32_e32 v1, v1, v5
	v_lshlrev_b32_e32 v5, 29, v0
	v_and_b32_e32 v2, v2, v3
	v_not_b32_e32 v3, v5
	v_cmp_gt_i64_e64 s[8:9], 0, v[4:5]
	v_ashrrev_i32_e32 v3, 31, v3
	v_xor_b32_e32 v5, s9, v3
	v_xor_b32_e32 v3, s8, v3
	v_and_b32_e32 v1, v1, v5
	v_lshlrev_b32_e32 v5, 28, v0
	v_and_b32_e32 v2, v2, v3
	v_not_b32_e32 v3, v5
	v_cmp_gt_i64_e64 s[8:9], 0, v[4:5]
	v_ashrrev_i32_e32 v3, 31, v3
	v_xor_b32_e32 v5, s9, v3
	;; [unrolled: 8-line block ×5, first 2 shown]
	v_and_b32_e32 v1, v1, v5
	v_lshlrev_b32_e32 v5, 24, v0
	v_not_b32_e32 v0, v5
	v_xor_b32_e32 v3, s8, v3
	v_cmp_gt_i64_e64 s[8:9], 0, v[4:5]
	v_ashrrev_i32_e32 v0, 31, v0
	v_and_b32_e32 v2, v2, v3
	v_xor_b32_e32 v3, s9, v0
	v_xor_b32_e32 v0, s8, v0
	v_and_b32_e32 v0, v2, v0
	v_and_b32_e32 v1, v1, v3
	v_mbcnt_lo_u32_b32 v2, v0, 0
	v_mbcnt_hi_u32_b32 v30, v1, v2
	v_cmp_eq_u32_e64 s[8:9], 0, v30
	v_cmp_ne_u64_e64 s[28:29], 0, v[0:1]
	s_and_b64 s[28:29], s[8:9], s[28:29]
	; wave barrier
	s_and_saveexec_b64 s[8:9], s[28:29]
	s_cbranch_execz .LBB30_42
; %bb.41:                               ;   in Loop: Header=BB30_38 Depth=1
	v_bcnt_u32_b32 v0, v0, 0
	v_bcnt_u32_b32 v0, v1, v0
	s_waitcnt lgkmcnt(0)
	v_add_u32_e32 v0, v8, v0
	ds_write_b32 v9, v0
.LBB30_42:                              ;   in Loop: Header=BB30_38 Depth=1
	s_or_b64 exec, exec, s[8:9]
	v_lshrrev_b32_sdwa v1, s39, v27 dst_sel:DWORD dst_unused:UNUSED_PAD src0_sel:DWORD src1_sel:WORD_0
	v_lshrrev_b32_sdwa v0, s36, v27 dst_sel:DWORD dst_unused:UNUSED_PAD src0_sel:DWORD src1_sel:WORD_1
	v_and_b32_e32 v1, s40, v1
	v_and_b32_e32 v0, s38, v0
	v_lshlrev_b32_e32 v1, s37, v1
	v_cndmask_b32_e64 v0, 0, v0, s[6:7]
	v_cndmask_b32_e32 v1, 0, v1, vcc
	v_or_b32_e32 v0, v0, v1
	v_lshlrev_b32_e32 v1, 1, v0
	v_add_lshl_u32 v1, v1, v25, 2
	; wave barrier
	v_add_u32_e32 v32, 8, v1
	ds_read_b32 v31, v1 offset:8
	v_and_b32_e32 v1, 1, v0
	v_add_co_u32_e64 v2, s[8:9], -1, v1
	v_addc_co_u32_e64 v3, s[8:9], 0, -1, s[8:9]
	v_cmp_ne_u32_e64 s[8:9], 0, v1
	v_lshlrev_b32_e32 v5, 30, v0
	v_xor_b32_e32 v1, s9, v3
	v_not_b32_e32 v3, v5
	v_xor_b32_e32 v2, s8, v2
	v_cmp_gt_i64_e64 s[8:9], 0, v[4:5]
	v_ashrrev_i32_e32 v3, 31, v3
	v_and_b32_e32 v1, exec_hi, v1
	v_xor_b32_e32 v5, s9, v3
	v_and_b32_e32 v2, exec_lo, v2
	v_xor_b32_e32 v3, s8, v3
	v_and_b32_e32 v1, v1, v5
	v_lshlrev_b32_e32 v5, 29, v0
	v_and_b32_e32 v2, v2, v3
	v_not_b32_e32 v3, v5
	v_cmp_gt_i64_e64 s[8:9], 0, v[4:5]
	v_ashrrev_i32_e32 v3, 31, v3
	v_xor_b32_e32 v5, s9, v3
	v_xor_b32_e32 v3, s8, v3
	v_and_b32_e32 v1, v1, v5
	v_lshlrev_b32_e32 v5, 28, v0
	v_and_b32_e32 v2, v2, v3
	v_not_b32_e32 v3, v5
	v_cmp_gt_i64_e64 s[8:9], 0, v[4:5]
	v_ashrrev_i32_e32 v3, 31, v3
	v_xor_b32_e32 v5, s9, v3
	;; [unrolled: 8-line block ×5, first 2 shown]
	v_and_b32_e32 v1, v1, v5
	v_lshlrev_b32_e32 v5, 24, v0
	v_not_b32_e32 v0, v5
	v_xor_b32_e32 v3, s8, v3
	v_cmp_gt_i64_e64 s[8:9], 0, v[4:5]
	v_ashrrev_i32_e32 v0, 31, v0
	v_and_b32_e32 v2, v2, v3
	v_xor_b32_e32 v3, s9, v0
	v_xor_b32_e32 v0, s8, v0
	v_and_b32_e32 v0, v2, v0
	v_and_b32_e32 v1, v1, v3
	v_mbcnt_lo_u32_b32 v2, v0, 0
	v_mbcnt_hi_u32_b32 v33, v1, v2
	v_cmp_eq_u32_e64 s[8:9], 0, v33
	v_cmp_ne_u64_e64 s[28:29], 0, v[0:1]
	s_and_b64 s[28:29], s[8:9], s[28:29]
	; wave barrier
	s_and_saveexec_b64 s[8:9], s[28:29]
	s_cbranch_execz .LBB30_44
; %bb.43:                               ;   in Loop: Header=BB30_38 Depth=1
	v_bcnt_u32_b32 v0, v0, 0
	v_bcnt_u32_b32 v0, v1, v0
	s_waitcnt lgkmcnt(0)
	v_add_u32_e32 v0, v31, v0
	ds_write_b32 v32, v0
.LBB30_44:                              ;   in Loop: Header=BB30_38 Depth=1
	s_or_b64 exec, exec, s[8:9]
	v_lshrrev_b32_sdwa v1, s39, v26 dst_sel:DWORD dst_unused:UNUSED_PAD src0_sel:DWORD src1_sel:WORD_0
	v_lshrrev_b32_sdwa v0, s36, v26 dst_sel:DWORD dst_unused:UNUSED_PAD src0_sel:DWORD src1_sel:WORD_1
	v_and_b32_e32 v1, s40, v1
	v_and_b32_e32 v0, s38, v0
	v_lshlrev_b32_e32 v1, s37, v1
	v_cndmask_b32_e64 v0, 0, v0, s[6:7]
	v_cndmask_b32_e32 v1, 0, v1, vcc
	v_or_b32_e32 v0, v0, v1
	v_lshlrev_b32_e32 v1, 1, v0
	v_add_lshl_u32 v1, v1, v25, 2
	; wave barrier
	v_add_u32_e32 v35, 8, v1
	ds_read_b32 v34, v1 offset:8
	v_and_b32_e32 v1, 1, v0
	v_add_co_u32_e32 v2, vcc, -1, v1
	v_addc_co_u32_e64 v3, s[6:7], 0, -1, vcc
	v_cmp_ne_u32_e32 vcc, 0, v1
	v_lshlrev_b32_e32 v5, 30, v0
	v_xor_b32_e32 v1, vcc_hi, v3
	v_not_b32_e32 v3, v5
	v_xor_b32_e32 v2, vcc_lo, v2
	v_cmp_gt_i64_e32 vcc, 0, v[4:5]
	v_ashrrev_i32_e32 v3, 31, v3
	v_and_b32_e32 v1, exec_hi, v1
	v_xor_b32_e32 v5, vcc_hi, v3
	v_and_b32_e32 v2, exec_lo, v2
	v_xor_b32_e32 v3, vcc_lo, v3
	v_and_b32_e32 v1, v1, v5
	v_lshlrev_b32_e32 v5, 29, v0
	v_and_b32_e32 v2, v2, v3
	v_not_b32_e32 v3, v5
	v_cmp_gt_i64_e32 vcc, 0, v[4:5]
	v_ashrrev_i32_e32 v3, 31, v3
	v_xor_b32_e32 v5, vcc_hi, v3
	v_xor_b32_e32 v3, vcc_lo, v3
	v_and_b32_e32 v1, v1, v5
	v_lshlrev_b32_e32 v5, 28, v0
	v_and_b32_e32 v2, v2, v3
	v_not_b32_e32 v3, v5
	v_cmp_gt_i64_e32 vcc, 0, v[4:5]
	v_ashrrev_i32_e32 v3, 31, v3
	v_xor_b32_e32 v5, vcc_hi, v3
	;; [unrolled: 8-line block ×5, first 2 shown]
	v_and_b32_e32 v1, v1, v5
	v_lshlrev_b32_e32 v5, 24, v0
	v_not_b32_e32 v0, v5
	v_xor_b32_e32 v3, vcc_lo, v3
	v_cmp_gt_i64_e32 vcc, 0, v[4:5]
	v_ashrrev_i32_e32 v0, 31, v0
	v_and_b32_e32 v2, v2, v3
	v_xor_b32_e32 v3, vcc_hi, v0
	v_xor_b32_e32 v0, vcc_lo, v0
	v_and_b32_e32 v0, v2, v0
	v_and_b32_e32 v1, v1, v3
	v_mbcnt_lo_u32_b32 v2, v0, 0
	v_mbcnt_hi_u32_b32 v36, v1, v2
	v_cmp_eq_u32_e32 vcc, 0, v36
	v_cmp_ne_u64_e64 s[6:7], 0, v[0:1]
	s_and_b64 s[8:9], vcc, s[6:7]
	; wave barrier
	s_and_saveexec_b64 s[6:7], s[8:9]
	s_cbranch_execz .LBB30_46
; %bb.45:                               ;   in Loop: Header=BB30_38 Depth=1
	v_bcnt_u32_b32 v0, v0, 0
	v_bcnt_u32_b32 v0, v1, v0
	s_waitcnt lgkmcnt(0)
	v_add_u32_e32 v0, v34, v0
	ds_write_b32 v35, v0
.LBB30_46:                              ;   in Loop: Header=BB30_38 Depth=1
	s_or_b64 exec, exec, s[6:7]
	; wave barrier
	s_waitcnt lgkmcnt(0)
	s_barrier
	ds_read2_b64 v[0:3], v11 offset0:1 offset1:2
	s_waitcnt lgkmcnt(0)
	v_add_u32_e32 v5, v1, v0
	v_add3_u32 v3, v5, v2, v3
	s_nop 1
	v_mov_b32_dpp v5, v3 row_shr:1 row_mask:0xf bank_mask:0xf
	v_cndmask_b32_e64 v5, v5, 0, s[12:13]
	v_add_u32_e32 v3, v5, v3
	s_nop 1
	v_mov_b32_dpp v5, v3 row_shr:2 row_mask:0xf bank_mask:0xf
	v_cndmask_b32_e64 v5, 0, v5, s[14:15]
	v_add_u32_e32 v3, v3, v5
	;; [unrolled: 4-line block ×4, first 2 shown]
	s_nop 1
	v_mov_b32_dpp v5, v3 row_bcast:15 row_mask:0xf bank_mask:0xf
	v_cndmask_b32_e64 v5, v5, 0, s[4:5]
	v_add_u32_e32 v3, v3, v5
	s_nop 1
	v_mov_b32_dpp v5, v3 row_bcast:31 row_mask:0xf bank_mask:0xf
	v_cndmask_b32_e64 v5, 0, v5, s[20:21]
	v_add_u32_e32 v3, v3, v5
	s_and_saveexec_b64 s[6:7], s[10:11]
	s_cbranch_execz .LBB30_48
; %bb.47:                               ;   in Loop: Header=BB30_38 Depth=1
	ds_write_b32 v23, v3
.LBB30_48:                              ;   in Loop: Header=BB30_38 Depth=1
	s_or_b64 exec, exec, s[6:7]
	s_waitcnt lgkmcnt(0)
	s_barrier
	s_and_saveexec_b64 s[6:7], s[22:23]
	s_cbranch_execz .LBB30_50
; %bb.49:                               ;   in Loop: Header=BB30_38 Depth=1
	ds_read_b32 v5, v20
	s_waitcnt lgkmcnt(0)
	s_nop 0
	v_mov_b32_dpp v37, v5 row_shr:1 row_mask:0xf bank_mask:0xf
	v_cndmask_b32_e64 v37, v37, 0, s[24:25]
	v_add_u32_e32 v5, v37, v5
	ds_write_b32 v20, v5
.LBB30_50:                              ;   in Loop: Header=BB30_38 Depth=1
	s_or_b64 exec, exec, s[6:7]
	v_mov_b32_e32 v5, 0
	s_waitcnt lgkmcnt(0)
	s_barrier
	s_and_saveexec_b64 s[6:7], s[26:27]
	s_cbranch_execz .LBB30_52
; %bb.51:                               ;   in Loop: Header=BB30_38 Depth=1
	ds_read_b32 v5, v21
.LBB30_52:                              ;   in Loop: Header=BB30_38 Depth=1
	s_or_b64 exec, exec, s[6:7]
	s_waitcnt lgkmcnt(0)
	v_add_u32_e32 v3, v5, v3
	ds_bpermute_b32 v3, v18, v3
	s_cmp_gt_u32 s36, 23
	s_waitcnt lgkmcnt(0)
	v_cndmask_b32_e64 v3, v3, v5, s[0:1]
	v_cndmask_b32_e64 v38, v3, 0, s[2:3]
	v_add_u32_e32 v39, v38, v0
	v_add_u32_e32 v0, v39, v1
	;; [unrolled: 1-line block ×3, first 2 shown]
	ds_write2_b64 v11, v[38:39], v[0:1] offset0:1 offset1:2
	s_waitcnt lgkmcnt(0)
	s_barrier
	ds_read_b32 v0, v6
	ds_read_b32 v1, v9
	;; [unrolled: 1-line block ×4, first 2 shown]
	v_lshlrev_b32_e32 v5, 2, v7
	s_waitcnt lgkmcnt(3)
	v_lshl_add_u32 v5, v0, 2, v5
	v_lshlrev_b32_e32 v0, 2, v30
	v_lshlrev_b32_e32 v6, 2, v8
	s_waitcnt lgkmcnt(2)
	v_lshlrev_b32_e32 v1, 2, v1
	v_add3_u32 v30, v0, v6, v1
	v_lshlrev_b32_e32 v0, 2, v33
	v_lshlrev_b32_e32 v1, 2, v31
	s_waitcnt lgkmcnt(1)
	v_lshlrev_b32_e32 v2, 2, v2
	v_add3_u32 v31, v0, v1, v2
	v_lshlrev_b32_e32 v0, 2, v36
	v_lshlrev_b32_e32 v1, 2, v34
	s_waitcnt lgkmcnt(0)
	v_lshlrev_b32_e32 v2, 2, v3
	v_add3_u32 v32, v0, v1, v2
	s_cbranch_scc0 .LBB30_37
; %bb.53:
                                        ; implicit-def: $vgpr9
                                        ; implicit-def: $vgpr7
                                        ; implicit-def: $sgpr36
                                        ; implicit-def: $vgpr0
                                        ; implicit-def: $vgpr2
                                        ; implicit-def: $sgpr33
.LBB30_54:
	s_barrier
	ds_write_b32 v5, v29
	ds_write_b32 v30, v28
	;; [unrolled: 1-line block ×4, first 2 shown]
	s_waitcnt lgkmcnt(0)
	s_barrier
	ds_read2_b64 v[6:9], v11 offset1:1
	v_or_b32_e32 v0, 1, v16
	v_or_b32_e32 v38, 3, v16
	s_waitcnt lgkmcnt(0)
	s_barrier
	ds_write_b32 v5, v24
	ds_write_b32 v30, v22
	;; [unrolled: 1-line block ×4, first 2 shown]
	s_waitcnt lgkmcnt(0)
	s_barrier
	v_mov_b32_e32 v37, v11
.LBB30_55:
	s_waitcnt vmcnt(0)
	v_lshlrev_b32_e32 v2, 2, v38
	v_lshlrev_b32_e32 v0, 2, v0
	ds_read2_b32 v[10:11], v37 offset1:2
	ds_read_b32 v1, v0
	ds_read_b32 v3, v2
	s_movk_i32 s0, 0x8000
	v_xor_b32_e32 v0, 0xffff8000, v6
	v_xor_b32_sdwa v2, v6, s0 dst_sel:DWORD dst_unused:UNUSED_PAD src0_sel:WORD_1 src1_sel:DWORD
	v_xor_b32_e32 v4, 0xffff8000, v7
	v_xor_b32_sdwa v5, v7, s0 dst_sel:DWORD dst_unused:UNUSED_PAD src0_sel:WORD_1 src1_sel:DWORD
	;; [unrolled: 2-line block ×4, first 2 shown]
	s_mov_b32 s0, 0x5040100
	v_perm_b32 v7, v9, v7, s0
	v_perm_b32 v6, v8, v6, s0
	;; [unrolled: 1-line block ×4, first 2 shown]
	s_waitcnt lgkmcnt(2)
	v_mov_b32_e32 v0, v10
	v_mov_b32_e32 v2, v11
	global_store_dwordx4 v[14:15], v[4:7], off
	s_waitcnt lgkmcnt(0)
	global_store_dwordx4 v[12:13], v[0:3], off
	s_endpgm
	.section	.rodata,"a",@progbits
	.p2align	6, 0x0
	.amdhsa_kernel _Z21sort_key_value_kernelILj128ELj4ELb0ELb0EN10test_utils16custom_test_typeIsEEiEvPT3_PT4_jj
		.amdhsa_group_segment_fixed_size 2064
		.amdhsa_private_segment_fixed_size 0
		.amdhsa_kernarg_size 280
		.amdhsa_user_sgpr_count 6
		.amdhsa_user_sgpr_private_segment_buffer 1
		.amdhsa_user_sgpr_dispatch_ptr 0
		.amdhsa_user_sgpr_queue_ptr 0
		.amdhsa_user_sgpr_kernarg_segment_ptr 1
		.amdhsa_user_sgpr_dispatch_id 0
		.amdhsa_user_sgpr_flat_scratch_init 0
		.amdhsa_user_sgpr_kernarg_preload_length 0
		.amdhsa_user_sgpr_kernarg_preload_offset 0
		.amdhsa_user_sgpr_private_segment_size 0
		.amdhsa_uses_dynamic_stack 0
		.amdhsa_system_sgpr_private_segment_wavefront_offset 0
		.amdhsa_system_sgpr_workgroup_id_x 1
		.amdhsa_system_sgpr_workgroup_id_y 0
		.amdhsa_system_sgpr_workgroup_id_z 0
		.amdhsa_system_sgpr_workgroup_info 0
		.amdhsa_system_vgpr_workitem_id 2
		.amdhsa_next_free_vgpr 69
		.amdhsa_next_free_sgpr 57
		.amdhsa_accum_offset 72
		.amdhsa_reserve_vcc 1
		.amdhsa_reserve_flat_scratch 0
		.amdhsa_float_round_mode_32 0
		.amdhsa_float_round_mode_16_64 0
		.amdhsa_float_denorm_mode_32 3
		.amdhsa_float_denorm_mode_16_64 3
		.amdhsa_dx10_clamp 1
		.amdhsa_ieee_mode 1
		.amdhsa_fp16_overflow 0
		.amdhsa_tg_split 0
		.amdhsa_exception_fp_ieee_invalid_op 0
		.amdhsa_exception_fp_denorm_src 0
		.amdhsa_exception_fp_ieee_div_zero 0
		.amdhsa_exception_fp_ieee_overflow 0
		.amdhsa_exception_fp_ieee_underflow 0
		.amdhsa_exception_fp_ieee_inexact 0
		.amdhsa_exception_int_div_zero 0
	.end_amdhsa_kernel
	.section	.text._Z21sort_key_value_kernelILj128ELj4ELb0ELb0EN10test_utils16custom_test_typeIsEEiEvPT3_PT4_jj,"axG",@progbits,_Z21sort_key_value_kernelILj128ELj4ELb0ELb0EN10test_utils16custom_test_typeIsEEiEvPT3_PT4_jj,comdat
.Lfunc_end30:
	.size	_Z21sort_key_value_kernelILj128ELj4ELb0ELb0EN10test_utils16custom_test_typeIsEEiEvPT3_PT4_jj, .Lfunc_end30-_Z21sort_key_value_kernelILj128ELj4ELb0ELb0EN10test_utils16custom_test_typeIsEEiEvPT3_PT4_jj
                                        ; -- End function
	.section	.AMDGPU.csdata,"",@progbits
; Kernel info:
; codeLenInByte = 10088
; NumSgprs: 61
; NumVgprs: 69
; NumAgprs: 0
; TotalNumVgprs: 69
; ScratchSize: 0
; MemoryBound: 0
; FloatMode: 240
; IeeeMode: 1
; LDSByteSize: 2064 bytes/workgroup (compile time only)
; SGPRBlocks: 7
; VGPRBlocks: 8
; NumSGPRsForWavesPerEU: 61
; NumVGPRsForWavesPerEU: 69
; AccumOffset: 72
; Occupancy: 7
; WaveLimiterHint : 0
; COMPUTE_PGM_RSRC2:SCRATCH_EN: 0
; COMPUTE_PGM_RSRC2:USER_SGPR: 6
; COMPUTE_PGM_RSRC2:TRAP_HANDLER: 0
; COMPUTE_PGM_RSRC2:TGID_X_EN: 1
; COMPUTE_PGM_RSRC2:TGID_Y_EN: 0
; COMPUTE_PGM_RSRC2:TGID_Z_EN: 0
; COMPUTE_PGM_RSRC2:TIDIG_COMP_CNT: 2
; COMPUTE_PGM_RSRC3_GFX90A:ACCUM_OFFSET: 17
; COMPUTE_PGM_RSRC3_GFX90A:TG_SPLIT: 0
	.section	.text._Z21sort_key_value_kernelILj60ELj1ELb0ELb1EtdEvPT3_PT4_jj,"axG",@progbits,_Z21sort_key_value_kernelILj60ELj1ELb0ELb1EtdEvPT3_PT4_jj,comdat
	.protected	_Z21sort_key_value_kernelILj60ELj1ELb0ELb1EtdEvPT3_PT4_jj ; -- Begin function _Z21sort_key_value_kernelILj60ELj1ELb0ELb1EtdEvPT3_PT4_jj
	.globl	_Z21sort_key_value_kernelILj60ELj1ELb0ELb1EtdEvPT3_PT4_jj
	.p2align	8
	.type	_Z21sort_key_value_kernelILj60ELj1ELb0ELb1EtdEvPT3_PT4_jj,@function
_Z21sort_key_value_kernelILj60ELj1ELb0ELb1EtdEvPT3_PT4_jj: ; @_Z21sort_key_value_kernelILj60ELj1ELb0ELb1EtdEvPT3_PT4_jj
; %bb.0:
	s_load_dwordx4 s[0:3], s[4:5], 0x0
	s_load_dwordx2 s[28:29], s[4:5], 0x10
	s_mul_i32 s4, s6, 60
	s_mov_b32 s5, 0
	s_lshl_b64 s[6:7], s[4:5], 1
	s_waitcnt lgkmcnt(0)
	s_add_u32 s24, s0, s6
	s_addc_u32 s25, s1, s7
	s_lshl_b64 s[0:1], s[4:5], 3
	v_lshlrev_b32_e32 v11, 1, v0
	s_add_u32 s26, s2, s0
	global_load_ushort v1, v11, s[24:25]
	s_addc_u32 s27, s3, s1
	v_lshlrev_b32_e32 v22, 3, v0
	global_load_dwordx2 v[14:15], v22, s[26:27]
	v_mbcnt_lo_u32_b32 v2, -1, 0
	v_mbcnt_hi_u32_b32 v2, -1, v2
	s_cmp_eq_u32 s28, 0
	v_add_u32_e32 v5, -1, v2
	v_and_b32_e32 v6, 64, v2
	s_cselect_b64 s[18:19], -1, 0
	s_cmp_eq_u32 s29, 16
	s_movk_i32 s0, 0x1e0
	v_cmp_lt_i32_e32 vcc, v5, v6
	s_cselect_b64 s[20:21], -1, 0
	s_movk_i32 s6, 0xffe2
	v_cmp_gt_u32_e64 s[16:17], s0, v0
	v_lshlrev_b32_e32 v19, 5, v0
	v_and_b32_e32 v3, 15, v2
	v_and_b32_e32 v4, 16, v2
	v_cmp_lt_u32_e64 s[4:5], 31, v2
	v_cmp_eq_u32_e64 s[0:1], 0, v2
	v_cndmask_b32_e32 v2, v5, v2, vcc
	s_and_b64 s[18:19], s[18:19], s[20:21]
	v_cmp_eq_u32_e64 s[2:3], 59, v0
	v_mul_u32_u24_e32 v17, 6, v0
	v_mad_i32_i24 v18, v0, s6, v19
	v_cmp_eq_u32_e64 s[14:15], 0, v3
	v_cmp_lt_u32_e64 s[12:13], 1, v3
	v_cmp_lt_u32_e64 s[10:11], 3, v3
	;; [unrolled: 1-line block ×3, first 2 shown]
	v_cmp_eq_u32_e64 s[6:7], 0, v4
	v_lshlrev_b32_e32 v20, 2, v2
	v_mov_b32_e32 v24, s25
	v_mov_b32_e32 v23, s27
	s_and_b64 vcc, exec, s[18:19]
	s_waitcnt vmcnt(1)
	v_xor_b32_e32 v21, -1, v1
	s_cbranch_vccnz .LBB31_36
; %bb.1:
	s_movk_i32 s18, 0x1a4
	v_mov_b32_e32 v1, 0x1a4
	v_cmp_gt_u32_e32 vcc, s18, v0
	v_subb_co_u32_e64 v1, s[18:19], v1, v0, vcc
	s_mov_b32 s18, 0x4444445
	v_mul_hi_u32 v1, v1, s18
	v_addc_co_u32_e32 v10, vcc, 0, v1, vcc
	v_lshrrev_b32_e32 v1, 1, v10
	v_add_u32_e32 v2, 1, v1
	v_and_b32_e32 v3, 3, v2
	v_mov_b32_e32 v1, v10
	v_cmp_lt_u32_e64 s[18:19], 5, v10
	v_and_b32_e32 v25, 28, v2
	v_cmp_ne_u32_e64 s[20:21], 0, v3
	v_lshlrev_b32_e32 v16, 2, v0
	s_movk_i32 s25, 0xf0
	v_mul_u32_u24_e32 v26, 0xf0, v3
	v_mov_b32_e32 v27, 0
	s_waitcnt vmcnt(0)
	v_pk_mov_b32 v[2:3], v[14:15], v[14:15] op_sel:[0,1]
	v_mov_b32_e32 v6, v21
	s_branch .LBB31_3
.LBB31_2:                               ;   in Loop: Header=BB31_3 Depth=1
	v_add_u32_e32 v2, v4, v5
	; wave barrier
	ds_write_b16 v4, v28
	s_waitcnt lgkmcnt(0)
	; wave barrier
	s_waitcnt lgkmcnt(0)
	ds_read_u16 v6, v18
	s_waitcnt lgkmcnt(0)
	; wave barrier
	s_waitcnt lgkmcnt(0)
	ds_write_b64 v2, v[12:13]
	v_add_u32_e32 v2, v18, v17
	s_waitcnt lgkmcnt(0)
	; wave barrier
	s_waitcnt lgkmcnt(0)
	ds_read_b64 v[2:3], v2
	s_waitcnt lgkmcnt(0)
	; wave barrier
	s_waitcnt lgkmcnt(0)
	s_cbranch_execz .LBB31_35
.LBB31_3:                               ; =>This Loop Header: Depth=1
                                        ;     Child Loop BB31_7 Depth 2
                                        ;     Child Loop BB31_27 Depth 2
	v_mov_b32_e32 v28, v6
	v_pk_mov_b32 v[12:13], v[2:3], v[2:3] op_sel:[0,1]
	s_and_saveexec_b64 s[30:31], s[16:17]
	s_cbranch_execz .LBB31_31
; %bb.4:                                ;   in Loop: Header=BB31_3 Depth=1
	v_mov_b32_e32 v4, 0
	s_and_saveexec_b64 s[34:35], s[18:19]
	s_cbranch_execz .LBB31_24
; %bb.5:                                ;   in Loop: Header=BB31_3 Depth=1
	s_mov_b32 s27, 0
	s_mov_b64 s[36:37], 0
	v_mov_b32_e32 v2, v25
	v_mov_b32_e32 v3, v16
	s_branch .LBB31_7
.LBB31_6:                               ;   in Loop: Header=BB31_7 Depth=2
	s_or_b64 exec, exec, s[22:23]
	v_add_u32_e32 v2, -4, v2
	s_add_i32 s22, s27, 8
	v_cmp_eq_u32_e32 vcc, 0, v2
	s_add_i32 s27, s33, 2
	v_add_u32_e32 v3, 0x780, v3
	s_or_b64 s[36:37], vcc, s[36:37]
	v_mov_b32_e32 v4, s22
	s_andn2_b64 exec, exec, s[36:37]
	s_cbranch_execz .LBB31_23
.LBB31_7:                               ;   Parent Loop BB31_3 Depth=1
                                        ; =>  This Inner Loop Header: Depth=2
	s_or_b32 s22, s27, 1
	v_cmp_le_u32_e32 vcc, s22, v1
	v_cmp_le_u32_e64 s[22:23], s27, v10
	s_and_saveexec_b64 s[38:39], s[22:23]
	s_cbranch_execz .LBB31_9
; %bb.8:                                ;   in Loop: Header=BB31_7 Depth=2
	ds_write_b32 v3, v27
.LBB31_9:                               ;   in Loop: Header=BB31_7 Depth=2
	s_or_b64 exec, exec, s[38:39]
	s_and_saveexec_b64 s[22:23], vcc
	s_cbranch_execz .LBB31_11
; %bb.10:                               ;   in Loop: Header=BB31_7 Depth=2
	ds_write_b32 v3, v27 offset:240
.LBB31_11:                              ;   in Loop: Header=BB31_7 Depth=2
	s_or_b64 exec, exec, s[22:23]
	s_add_i32 s33, s27, 2
	s_add_i32 s22, s27, 3
	v_cmp_le_u32_e32 vcc, s22, v1
	v_cmp_le_u32_e64 s[22:23], s33, v10
	s_and_saveexec_b64 s[38:39], s[22:23]
	s_cbranch_execz .LBB31_13
; %bb.12:                               ;   in Loop: Header=BB31_7 Depth=2
	ds_write_b32 v3, v27 offset:480
.LBB31_13:                              ;   in Loop: Header=BB31_7 Depth=2
	s_or_b64 exec, exec, s[38:39]
	s_and_saveexec_b64 s[22:23], vcc
	s_cbranch_execz .LBB31_15
; %bb.14:                               ;   in Loop: Header=BB31_7 Depth=2
	ds_write_b32 v3, v27 offset:720
.LBB31_15:                              ;   in Loop: Header=BB31_7 Depth=2
	s_or_b64 exec, exec, s[22:23]
	s_add_i32 s40, s33, 2
	s_add_i32 s33, s33, 3
	v_cmp_le_u32_e32 vcc, s33, v1
	v_cmp_le_u32_e64 s[22:23], s40, v10
	s_and_saveexec_b64 s[38:39], s[22:23]
	s_cbranch_execz .LBB31_17
; %bb.16:                               ;   in Loop: Header=BB31_7 Depth=2
	ds_write_b32 v3, v27 offset:960
.LBB31_17:                              ;   in Loop: Header=BB31_7 Depth=2
	;; [unrolled: 16-line block ×3, first 2 shown]
	s_or_b64 exec, exec, s[38:39]
	s_and_saveexec_b64 s[22:23], vcc
	s_cbranch_execz .LBB31_6
; %bb.22:                               ;   in Loop: Header=BB31_7 Depth=2
	ds_write_b32 v3, v27 offset:1680
	s_branch .LBB31_6
.LBB31_23:                              ;   in Loop: Header=BB31_3 Depth=1
	s_or_b64 exec, exec, s[36:37]
.LBB31_24:                              ;   in Loop: Header=BB31_3 Depth=1
	s_or_b64 exec, exec, s[34:35]
	s_and_b64 exec, exec, s[20:21]
	s_cbranch_execz .LBB31_31
; %bb.25:                               ;   in Loop: Header=BB31_3 Depth=1
	v_mad_u64_u32 v[2:3], s[22:23], v4, s25, v[16:17]
	s_mov_b64 s[34:35], 0
	v_mov_b32_e32 v3, v26
	s_branch .LBB31_27
.LBB31_26:                              ;   in Loop: Header=BB31_27 Depth=2
	s_or_b64 exec, exec, s[22:23]
	v_add_u32_e32 v3, 0xffffff10, v3
	v_cmp_eq_u32_e32 vcc, 0, v3
	v_add_u32_e32 v4, 2, v4
	s_or_b64 s[34:35], vcc, s[34:35]
	v_add_u32_e32 v2, 0x1e0, v2
	s_andn2_b64 exec, exec, s[34:35]
	s_cbranch_execz .LBB31_31
.LBB31_27:                              ;   Parent Loop BB31_3 Depth=1
                                        ; =>  This Inner Loop Header: Depth=2
	v_or_b32_e32 v5, 1, v4
	v_cmp_le_u32_e32 vcc, v5, v1
	v_cmp_le_u32_e64 s[22:23], v4, v10
	s_and_saveexec_b64 s[36:37], s[22:23]
	s_cbranch_execz .LBB31_29
; %bb.28:                               ;   in Loop: Header=BB31_27 Depth=2
	ds_write_b32 v2, v27
.LBB31_29:                              ;   in Loop: Header=BB31_27 Depth=2
	s_or_b64 exec, exec, s[36:37]
	s_and_saveexec_b64 s[22:23], vcc
	s_cbranch_execz .LBB31_26
; %bb.30:                               ;   in Loop: Header=BB31_27 Depth=2
	ds_write_b32 v2, v27 offset:240
	s_branch .LBB31_26
.LBB31_31:                              ;   in Loop: Header=BB31_3 Depth=1
	s_or_b64 exec, exec, s[30:31]
	s_sub_i32 s22, s29, s28
	s_min_u32 s22, s22, 4
	v_lshrrev_b32_sdwa v2, s28, v28 dst_sel:DWORD dst_unused:UNUSED_PAD src0_sel:DWORD src1_sel:WORD_0
	v_bfe_u32 v2, v2, 0, s22
	v_and_b32_e32 v3, 7, v2
	v_mul_u32_u24_e32 v3, 60, v3
	v_lshrrev_b32_e32 v2, 3, v2
	v_add_lshl_u32 v3, v3, v0, 1
	v_add_lshl_u32 v30, v3, v2, 1
	ds_read_u16 v29, v30
	s_waitcnt lgkmcnt(0)
	v_add_u16_e32 v2, 1, v29
	ds_write_b16 v30, v2
	s_waitcnt lgkmcnt(0)
	; wave barrier
	s_waitcnt lgkmcnt(0)
	ds_read2_b64 v[6:9], v19 offset1:1
	ds_read2_b64 v[2:5], v19 offset0:2 offset1:3
	s_waitcnt lgkmcnt(1)
	v_add_u32_e32 v31, v7, v6
	v_add3_u32 v31, v31, v8, v9
	s_waitcnt lgkmcnt(0)
	v_add3_u32 v31, v31, v2, v3
	v_add3_u32 v5, v31, v4, v5
	s_nop 1
	v_mov_b32_dpp v31, v5 row_shr:1 row_mask:0xf bank_mask:0xf
	v_cndmask_b32_e64 v31, v31, 0, s[14:15]
	v_add_u32_e32 v5, v31, v5
	s_nop 1
	v_mov_b32_dpp v31, v5 row_shr:2 row_mask:0xf bank_mask:0xf
	v_cndmask_b32_e64 v31, 0, v31, s[12:13]
	v_add_u32_e32 v5, v5, v31
	;; [unrolled: 4-line block ×4, first 2 shown]
	s_nop 1
	v_mov_b32_dpp v31, v5 row_bcast:15 row_mask:0xf bank_mask:0xf
	v_cndmask_b32_e64 v31, v31, 0, s[6:7]
	v_add_u32_e32 v5, v5, v31
	s_nop 1
	v_mov_b32_dpp v31, v5 row_bcast:31 row_mask:0xf bank_mask:0xf
	v_cndmask_b32_e64 v31, 0, v31, s[4:5]
	v_add_u32_e32 v5, v5, v31
	s_and_saveexec_b64 s[22:23], s[2:3]
	s_cbranch_execz .LBB31_33
; %bb.32:                               ;   in Loop: Header=BB31_3 Depth=1
	ds_write_b32 v27, v5 offset:1920
.LBB31_33:                              ;   in Loop: Header=BB31_3 Depth=1
	s_or_b64 exec, exec, s[22:23]
	ds_bpermute_b32 v5, v20, v5
	s_waitcnt lgkmcnt(0)
	; wave barrier
	s_waitcnt lgkmcnt(0)
	ds_read_b32 v31, v27 offset:1920
	s_add_i32 s28, s28, 4
	v_cndmask_b32_e64 v5, v5, 0, s[0:1]
	s_cmp_ge_u32 s28, s29
	s_waitcnt lgkmcnt(0)
	v_lshl_add_u32 v32, v31, 16, v5
	v_add_u32_e32 v33, v32, v6
	v_add_u32_e32 v6, v33, v7
	;; [unrolled: 1-line block ×7, first 2 shown]
	ds_write2_b64 v19, v[32:33], v[6:7] offset1:1
	ds_write2_b64 v19, v[8:9], v[2:3] offset0:2 offset1:3
	s_waitcnt lgkmcnt(0)
	; wave barrier
	s_waitcnt lgkmcnt(0)
	ds_read_u16 v2, v30
	s_waitcnt lgkmcnt(0)
	v_add_u32_sdwa v2, v2, v29 dst_sel:DWORD dst_unused:UNUSED_PAD src0_sel:DWORD src1_sel:WORD_0
	v_lshlrev_b32_e32 v4, 1, v2
	v_mul_u32_u24_e32 v5, 6, v2
	s_cbranch_scc0 .LBB31_2
; %bb.34:
                                        ; implicit-def: $vgpr6
                                        ; implicit-def: $vgpr2_vgpr3
.LBB31_35:
	; wave barrier
	ds_write_b16 v4, v28
	s_waitcnt lgkmcnt(0)
	; wave barrier
	s_waitcnt lgkmcnt(0)
	ds_read_u16 v1, v18
	v_add_u32_e32 v2, v4, v5
	s_mov_b64 s[18:19], 0
	s_waitcnt lgkmcnt(0)
	; wave barrier
	s_waitcnt lgkmcnt(0)
	ds_write_b64 v2, v[12:13]
	s_waitcnt lgkmcnt(0)
	; wave barrier
	s_branch .LBB31_37
.LBB31_36:
	s_mov_b64 s[18:19], -1
                                        ; implicit-def: $vgpr1
.LBB31_37:
	v_add_co_u32_e32 v10, vcc, s24, v11
	v_addc_co_u32_e32 v11, vcc, 0, v24, vcc
	v_add_co_u32_e32 v12, vcc, s26, v22
	v_addc_co_u32_e32 v13, vcc, 0, v23, vcc
	s_and_b64 vcc, exec, s[18:19]
	s_cbranch_vccz .LBB31_159
; %bb.38:
	s_and_saveexec_b64 s[20:21], s[16:17]
	s_cbranch_execz .LBB31_66
; %bb.39:
	s_movk_i32 s18, 0x1a4
	v_mov_b32_e32 v1, 0x1a4
	v_cmp_gt_u32_e32 vcc, s18, v0
	v_subb_co_u32_e64 v1, s[18:19], v1, v0, vcc
	s_mov_b32 s18, 0x4444445
	v_mul_hi_u32 v2, v1, s18
	v_cndmask_b32_e64 v3, 0, 1, vcc
	v_addc_co_u32_e64 v1, s[18:19], 0, v2, vcc
	v_add_u16_e32 v2, v2, v3
	v_lshrrev_b16_e32 v2, 1, v2
	s_mov_b32 s28, 0
	v_mov_b32_e32 v6, 0
	v_add_u32_e32 v2, 1, v2
	v_cmp_lt_u32_e32 vcc, 5, v1
	s_and_saveexec_b64 s[22:23], vcc
	s_cbranch_execz .LBB31_59
; %bb.40:
	v_and_b32_e32 v3, 0xfffc, v2
	v_lshlrev_b32_e32 v4, 2, v0
	s_mov_b64 s[24:25], 0
	v_mov_b32_e32 v5, 0
	s_branch .LBB31_42
.LBB31_41:                              ;   in Loop: Header=BB31_42 Depth=1
	s_or_b64 exec, exec, s[18:19]
	v_add_u32_e32 v3, -4, v3
	s_add_i32 s18, s28, 8
	v_cmp_eq_u32_e32 vcc, 0, v3
	s_add_i32 s28, s29, 2
	v_add_u32_e32 v4, 0x780, v4
	s_or_b64 s[24:25], vcc, s[24:25]
	v_mov_b32_e32 v6, s18
	s_andn2_b64 exec, exec, s[24:25]
	s_cbranch_execz .LBB31_58
.LBB31_42:                              ; =>This Inner Loop Header: Depth=1
	s_or_b32 s18, s28, 1
	v_cmp_le_u32_e32 vcc, s18, v1
	v_cmp_le_u32_e64 s[18:19], s28, v1
	s_and_saveexec_b64 s[26:27], s[18:19]
	s_cbranch_execz .LBB31_44
; %bb.43:                               ;   in Loop: Header=BB31_42 Depth=1
	ds_write_b32 v4, v5
.LBB31_44:                              ;   in Loop: Header=BB31_42 Depth=1
	s_or_b64 exec, exec, s[26:27]
	s_and_saveexec_b64 s[18:19], vcc
	s_cbranch_execz .LBB31_46
; %bb.45:                               ;   in Loop: Header=BB31_42 Depth=1
	ds_write_b32 v4, v5 offset:240
.LBB31_46:                              ;   in Loop: Header=BB31_42 Depth=1
	s_or_b64 exec, exec, s[18:19]
	s_add_i32 s29, s28, 2
	s_add_i32 s18, s28, 3
	v_cmp_le_u32_e32 vcc, s18, v1
	v_cmp_le_u32_e64 s[18:19], s29, v1
	s_and_saveexec_b64 s[26:27], s[18:19]
	s_cbranch_execz .LBB31_48
; %bb.47:                               ;   in Loop: Header=BB31_42 Depth=1
	ds_write_b32 v4, v5 offset:480
.LBB31_48:                              ;   in Loop: Header=BB31_42 Depth=1
	s_or_b64 exec, exec, s[26:27]
	s_and_saveexec_b64 s[18:19], vcc
	s_cbranch_execz .LBB31_50
; %bb.49:                               ;   in Loop: Header=BB31_42 Depth=1
	ds_write_b32 v4, v5 offset:720
.LBB31_50:                              ;   in Loop: Header=BB31_42 Depth=1
	s_or_b64 exec, exec, s[18:19]
	s_add_i32 s30, s29, 2
	s_add_i32 s29, s29, 3
	v_cmp_le_u32_e32 vcc, s29, v1
	v_cmp_le_u32_e64 s[18:19], s30, v1
	s_and_saveexec_b64 s[26:27], s[18:19]
	s_cbranch_execz .LBB31_52
; %bb.51:                               ;   in Loop: Header=BB31_42 Depth=1
	ds_write_b32 v4, v5 offset:960
.LBB31_52:                              ;   in Loop: Header=BB31_42 Depth=1
	;; [unrolled: 16-line block ×3, first 2 shown]
	s_or_b64 exec, exec, s[26:27]
	s_and_saveexec_b64 s[18:19], vcc
	s_cbranch_execz .LBB31_41
; %bb.57:                               ;   in Loop: Header=BB31_42 Depth=1
	ds_write_b32 v4, v5 offset:1680
	s_branch .LBB31_41
.LBB31_58:
	s_or_b64 exec, exec, s[24:25]
.LBB31_59:
	s_or_b64 exec, exec, s[22:23]
	v_and_b32_e32 v3, 3, v2
	v_cmp_ne_u32_e32 vcc, 0, v3
	s_and_b64 exec, exec, vcc
	s_cbranch_execz .LBB31_66
; %bb.60:
	s_movk_i32 s18, 0xf0
	v_mul_lo_u32 v2, v6, s18
	v_lshl_add_u32 v2, v0, 2, v2
	v_mul_u32_u24_e32 v3, 0xf0, v3
	s_mov_b64 s[22:23], 0
	v_mov_b32_e32 v4, 0
	s_branch .LBB31_62
.LBB31_61:                              ;   in Loop: Header=BB31_62 Depth=1
	s_or_b64 exec, exec, s[18:19]
	v_add_u32_e32 v3, 0xffffff10, v3
	v_cmp_eq_u32_e32 vcc, 0, v3
	v_add_u32_e32 v6, 2, v6
	s_or_b64 s[22:23], vcc, s[22:23]
	v_add_u32_e32 v2, 0x1e0, v2
	s_andn2_b64 exec, exec, s[22:23]
	s_cbranch_execz .LBB31_66
.LBB31_62:                              ; =>This Inner Loop Header: Depth=1
	v_or_b32_e32 v5, 1, v6
	v_cmp_le_u32_e32 vcc, v5, v1
	v_cmp_le_u32_e64 s[18:19], v6, v1
	s_and_saveexec_b64 s[24:25], s[18:19]
	s_cbranch_execz .LBB31_64
; %bb.63:                               ;   in Loop: Header=BB31_62 Depth=1
	ds_write_b32 v2, v4
.LBB31_64:                              ;   in Loop: Header=BB31_62 Depth=1
	s_or_b64 exec, exec, s[24:25]
	s_and_saveexec_b64 s[18:19], vcc
	s_cbranch_execz .LBB31_61
; %bb.65:                               ;   in Loop: Header=BB31_62 Depth=1
	ds_write_b32 v2, v4 offset:240
	s_branch .LBB31_61
.LBB31_66:
	s_or_b64 exec, exec, s[20:21]
	v_mov_b32_e32 v1, 7
	v_mov_b32_e32 v2, 2
	v_and_b32_sdwa v1, v21, v1 dst_sel:DWORD dst_unused:UNUSED_PAD src0_sel:WORD_0 src1_sel:DWORD
	v_lshrrev_b32_sdwa v2, v2, v21 dst_sel:DWORD dst_unused:UNUSED_PAD src0_sel:DWORD src1_sel:WORD_0
	v_mad_u32_u24 v1, v1, 60, v0
	v_and_b32_e32 v2, 2, v2
	v_lshl_or_b32 v1, v1, 2, v2
	ds_read_u16 v16, v1
	s_waitcnt lgkmcnt(0)
	v_add_u16_e32 v2, 1, v16
	ds_write_b16 v1, v2
	s_waitcnt lgkmcnt(0)
	; wave barrier
	s_waitcnt lgkmcnt(0)
	ds_read2_b64 v[6:9], v19 offset1:1
	ds_read2_b64 v[2:5], v19 offset0:2 offset1:3
	s_waitcnt lgkmcnt(1)
	v_add_u32_e32 v22, v7, v6
	v_add3_u32 v22, v22, v8, v9
	s_waitcnt lgkmcnt(0)
	v_add3_u32 v22, v22, v2, v3
	v_add3_u32 v5, v22, v4, v5
	s_nop 1
	v_mov_b32_dpp v22, v5 row_shr:1 row_mask:0xf bank_mask:0xf
	v_cndmask_b32_e64 v22, v22, 0, s[14:15]
	v_add_u32_e32 v5, v22, v5
	s_nop 1
	v_mov_b32_dpp v22, v5 row_shr:2 row_mask:0xf bank_mask:0xf
	v_cndmask_b32_e64 v22, 0, v22, s[12:13]
	v_add_u32_e32 v5, v5, v22
	;; [unrolled: 4-line block ×4, first 2 shown]
	s_nop 1
	v_mov_b32_dpp v22, v5 row_bcast:15 row_mask:0xf bank_mask:0xf
	v_cndmask_b32_e64 v22, v22, 0, s[6:7]
	v_add_u32_e32 v5, v5, v22
	s_nop 1
	v_mov_b32_dpp v22, v5 row_bcast:31 row_mask:0xf bank_mask:0xf
	v_cndmask_b32_e64 v22, 0, v22, s[4:5]
	v_add_u32_e32 v5, v5, v22
	s_and_saveexec_b64 s[18:19], s[2:3]
	s_cbranch_execz .LBB31_68
; %bb.67:
	v_mov_b32_e32 v22, 0
	ds_write_b32 v22, v5 offset:1920
.LBB31_68:
	s_or_b64 exec, exec, s[18:19]
	ds_bpermute_b32 v22, v20, v5
	v_mov_b32_e32 v5, 0
	s_waitcnt lgkmcnt(0)
	; wave barrier
	s_waitcnt lgkmcnt(0)
	ds_read_b32 v23, v5 offset:1920
	v_cndmask_b32_e64 v22, v22, 0, s[0:1]
	s_waitcnt lgkmcnt(0)
	v_lshl_add_u32 v22, v23, 16, v22
	v_add_u32_e32 v23, v22, v6
	v_add_u32_e32 v6, v23, v7
	;; [unrolled: 1-line block ×7, first 2 shown]
	ds_write2_b64 v19, v[22:23], v[6:7] offset1:1
	ds_write2_b64 v19, v[8:9], v[2:3] offset0:2 offset1:3
	s_waitcnt lgkmcnt(0)
	; wave barrier
	s_waitcnt lgkmcnt(0)
	ds_read_u16 v1, v1
	s_waitcnt lgkmcnt(0)
	; wave barrier
	s_waitcnt lgkmcnt(0)
	v_add_u32_sdwa v1, v1, v16 dst_sel:DWORD dst_unused:UNUSED_PAD src0_sel:DWORD src1_sel:WORD_0
	v_lshlrev_b32_e32 v2, 1, v1
	v_mad_u32_u24 v1, v1, 6, v2
	ds_write_b16 v2, v21
	s_waitcnt lgkmcnt(0)
	; wave barrier
	s_waitcnt lgkmcnt(0)
	ds_read_u16 v16, v18
	s_waitcnt lgkmcnt(0)
	; wave barrier
	s_waitcnt vmcnt(0) lgkmcnt(0)
	ds_write_b64 v1, v[14:15]
	v_add_u32_e32 v1, v18, v17
	s_waitcnt lgkmcnt(0)
	; wave barrier
	s_waitcnt lgkmcnt(0)
	ds_read_b64 v[14:15], v1
	s_waitcnt lgkmcnt(0)
	; wave barrier
	s_waitcnt lgkmcnt(0)
	s_and_saveexec_b64 s[20:21], s[16:17]
	s_cbranch_execz .LBB31_96
; %bb.69:
	s_movk_i32 s18, 0x1a4
	v_mov_b32_e32 v2, 0x1a4
	v_cmp_gt_u32_e32 vcc, s18, v0
	v_subb_co_u32_e64 v2, s[18:19], v2, v0, vcc
	s_mov_b32 s18, 0x4444445
	v_mul_hi_u32 v3, v2, s18
	v_cndmask_b32_e64 v4, 0, 1, vcc
	v_addc_co_u32_e64 v2, s[18:19], 0, v3, vcc
	v_add_u16_e32 v3, v3, v4
	v_lshrrev_b16_e32 v3, 1, v3
	s_mov_b32 s28, 0
	v_add_u32_e32 v3, 1, v3
	v_cmp_lt_u32_e32 vcc, 5, v2
	s_and_saveexec_b64 s[22:23], vcc
	s_cbranch_execz .LBB31_89
; %bb.70:
	v_and_b32_e32 v4, 0xfffc, v3
	v_lshlrev_b32_e32 v6, 2, v0
	s_mov_b64 s[24:25], 0
	v_mov_b32_e32 v7, 0
	s_branch .LBB31_72
.LBB31_71:                              ;   in Loop: Header=BB31_72 Depth=1
	s_or_b64 exec, exec, s[18:19]
	v_add_u32_e32 v4, -4, v4
	s_add_i32 s18, s28, 8
	v_cmp_eq_u32_e32 vcc, 0, v4
	s_add_i32 s28, s29, 2
	v_add_u32_e32 v6, 0x780, v6
	s_or_b64 s[24:25], vcc, s[24:25]
	v_mov_b32_e32 v5, s18
	s_andn2_b64 exec, exec, s[24:25]
	s_cbranch_execz .LBB31_88
.LBB31_72:                              ; =>This Inner Loop Header: Depth=1
	s_or_b32 s18, s28, 1
	v_cmp_le_u32_e32 vcc, s18, v2
	v_cmp_le_u32_e64 s[18:19], s28, v2
	s_and_saveexec_b64 s[26:27], s[18:19]
	s_cbranch_execz .LBB31_74
; %bb.73:                               ;   in Loop: Header=BB31_72 Depth=1
	ds_write_b32 v6, v7
.LBB31_74:                              ;   in Loop: Header=BB31_72 Depth=1
	s_or_b64 exec, exec, s[26:27]
	s_and_saveexec_b64 s[18:19], vcc
	s_cbranch_execz .LBB31_76
; %bb.75:                               ;   in Loop: Header=BB31_72 Depth=1
	ds_write_b32 v6, v7 offset:240
.LBB31_76:                              ;   in Loop: Header=BB31_72 Depth=1
	s_or_b64 exec, exec, s[18:19]
	s_add_i32 s29, s28, 2
	s_add_i32 s18, s28, 3
	v_cmp_le_u32_e32 vcc, s18, v2
	v_cmp_le_u32_e64 s[18:19], s29, v2
	s_and_saveexec_b64 s[26:27], s[18:19]
	s_cbranch_execz .LBB31_78
; %bb.77:                               ;   in Loop: Header=BB31_72 Depth=1
	ds_write_b32 v6, v7 offset:480
.LBB31_78:                              ;   in Loop: Header=BB31_72 Depth=1
	s_or_b64 exec, exec, s[26:27]
	s_and_saveexec_b64 s[18:19], vcc
	s_cbranch_execz .LBB31_80
; %bb.79:                               ;   in Loop: Header=BB31_72 Depth=1
	ds_write_b32 v6, v7 offset:720
.LBB31_80:                              ;   in Loop: Header=BB31_72 Depth=1
	s_or_b64 exec, exec, s[18:19]
	s_add_i32 s30, s29, 2
	s_add_i32 s29, s29, 3
	v_cmp_le_u32_e32 vcc, s29, v2
	v_cmp_le_u32_e64 s[18:19], s30, v2
	s_and_saveexec_b64 s[26:27], s[18:19]
	s_cbranch_execz .LBB31_82
; %bb.81:                               ;   in Loop: Header=BB31_72 Depth=1
	ds_write_b32 v6, v7 offset:960
.LBB31_82:                              ;   in Loop: Header=BB31_72 Depth=1
	;; [unrolled: 16-line block ×3, first 2 shown]
	s_or_b64 exec, exec, s[26:27]
	s_and_saveexec_b64 s[18:19], vcc
	s_cbranch_execz .LBB31_71
; %bb.87:                               ;   in Loop: Header=BB31_72 Depth=1
	ds_write_b32 v6, v7 offset:1680
	s_branch .LBB31_71
.LBB31_88:
	s_or_b64 exec, exec, s[24:25]
.LBB31_89:
	s_or_b64 exec, exec, s[22:23]
	v_and_b32_e32 v4, 3, v3
	v_cmp_ne_u32_e32 vcc, 0, v4
	s_and_b64 exec, exec, vcc
	s_cbranch_execz .LBB31_96
; %bb.90:
	s_movk_i32 s18, 0xf0
	v_mul_lo_u32 v3, v5, s18
	v_lshl_add_u32 v3, v0, 2, v3
	v_mul_u32_u24_e32 v4, 0xf0, v4
	s_mov_b64 s[22:23], 0
	v_mov_b32_e32 v6, 0
	s_branch .LBB31_92
.LBB31_91:                              ;   in Loop: Header=BB31_92 Depth=1
	s_or_b64 exec, exec, s[18:19]
	v_add_u32_e32 v4, 0xffffff10, v4
	v_cmp_eq_u32_e32 vcc, 0, v4
	v_add_u32_e32 v5, 2, v5
	s_or_b64 s[22:23], vcc, s[22:23]
	v_add_u32_e32 v3, 0x1e0, v3
	s_andn2_b64 exec, exec, s[22:23]
	s_cbranch_execz .LBB31_96
.LBB31_92:                              ; =>This Inner Loop Header: Depth=1
	v_or_b32_e32 v7, 1, v5
	v_cmp_le_u32_e32 vcc, v7, v2
	v_cmp_le_u32_e64 s[18:19], v5, v2
	s_and_saveexec_b64 s[24:25], s[18:19]
	s_cbranch_execz .LBB31_94
; %bb.93:                               ;   in Loop: Header=BB31_92 Depth=1
	ds_write_b32 v3, v6
.LBB31_94:                              ;   in Loop: Header=BB31_92 Depth=1
	s_or_b64 exec, exec, s[24:25]
	s_and_saveexec_b64 s[18:19], vcc
	s_cbranch_execz .LBB31_91
; %bb.95:                               ;   in Loop: Header=BB31_92 Depth=1
	ds_write_b32 v3, v6 offset:240
	s_branch .LBB31_91
.LBB31_96:
	s_or_b64 exec, exec, s[20:21]
	v_lshrrev_b16_e32 v2, 4, v16
	v_and_b32_e32 v3, 7, v2
	v_lshrrev_b32_e32 v2, 2, v2
	v_mad_u32_u24 v3, v3, 60, v0
	v_and_b32_e32 v2, 2, v2
	v_lshl_or_b32 v21, v3, 2, v2
	ds_read_u16 v22, v21
	s_waitcnt lgkmcnt(0)
	v_add_u16_e32 v2, 1, v22
	ds_write_b16 v21, v2
	s_waitcnt lgkmcnt(0)
	; wave barrier
	s_waitcnt lgkmcnt(0)
	ds_read2_b64 v[6:9], v19 offset1:1
	ds_read2_b64 v[2:5], v19 offset0:2 offset1:3
	s_waitcnt lgkmcnt(1)
	v_add_u32_e32 v23, v7, v6
	v_add3_u32 v23, v23, v8, v9
	s_waitcnt lgkmcnt(0)
	v_add3_u32 v23, v23, v2, v3
	v_add3_u32 v5, v23, v4, v5
	s_nop 1
	v_mov_b32_dpp v23, v5 row_shr:1 row_mask:0xf bank_mask:0xf
	v_cndmask_b32_e64 v23, v23, 0, s[14:15]
	v_add_u32_e32 v5, v23, v5
	s_nop 1
	v_mov_b32_dpp v23, v5 row_shr:2 row_mask:0xf bank_mask:0xf
	v_cndmask_b32_e64 v23, 0, v23, s[12:13]
	v_add_u32_e32 v5, v5, v23
	s_nop 1
	v_mov_b32_dpp v23, v5 row_shr:4 row_mask:0xf bank_mask:0xf
	v_cndmask_b32_e64 v23, 0, v23, s[10:11]
	v_add_u32_e32 v5, v5, v23
	s_nop 1
	v_mov_b32_dpp v23, v5 row_shr:8 row_mask:0xf bank_mask:0xf
	v_cndmask_b32_e64 v23, 0, v23, s[8:9]
	v_add_u32_e32 v5, v5, v23
	s_nop 1
	v_mov_b32_dpp v23, v5 row_bcast:15 row_mask:0xf bank_mask:0xf
	v_cndmask_b32_e64 v23, v23, 0, s[6:7]
	v_add_u32_e32 v5, v5, v23
	s_nop 1
	v_mov_b32_dpp v23, v5 row_bcast:31 row_mask:0xf bank_mask:0xf
	v_cndmask_b32_e64 v23, 0, v23, s[4:5]
	v_add_u32_e32 v5, v5, v23
	s_and_saveexec_b64 s[18:19], s[2:3]
	s_cbranch_execz .LBB31_98
; %bb.97:
	v_mov_b32_e32 v23, 0
	ds_write_b32 v23, v5 offset:1920
.LBB31_98:
	s_or_b64 exec, exec, s[18:19]
	ds_bpermute_b32 v23, v20, v5
	v_mov_b32_e32 v5, 0
	s_waitcnt lgkmcnt(0)
	; wave barrier
	s_waitcnt lgkmcnt(0)
	ds_read_b32 v24, v5 offset:1920
	v_cndmask_b32_e64 v23, v23, 0, s[0:1]
	s_waitcnt lgkmcnt(0)
	v_lshl_add_u32 v24, v24, 16, v23
	v_add_u32_e32 v25, v24, v6
	v_add_u32_e32 v6, v25, v7
	;; [unrolled: 1-line block ×7, first 2 shown]
	ds_write2_b64 v19, v[24:25], v[6:7] offset1:1
	ds_write2_b64 v19, v[8:9], v[2:3] offset0:2 offset1:3
	s_waitcnt lgkmcnt(0)
	; wave barrier
	s_waitcnt lgkmcnt(0)
	ds_read_u16 v2, v21
	s_waitcnt lgkmcnt(0)
	; wave barrier
	s_waitcnt lgkmcnt(0)
	v_add_u32_sdwa v2, v2, v22 dst_sel:DWORD dst_unused:UNUSED_PAD src0_sel:DWORD src1_sel:WORD_0
	v_lshlrev_b32_e32 v3, 1, v2
	v_mad_u32_u24 v2, v2, 6, v3
	ds_write_b16 v3, v16
	s_waitcnt lgkmcnt(0)
	; wave barrier
	s_waitcnt lgkmcnt(0)
	ds_read_u16 v16, v18
	s_waitcnt lgkmcnt(0)
	; wave barrier
	s_waitcnt lgkmcnt(0)
	ds_write_b64 v2, v[14:15]
	s_waitcnt lgkmcnt(0)
	; wave barrier
	s_waitcnt lgkmcnt(0)
	ds_read_b64 v[14:15], v1
	s_waitcnt lgkmcnt(0)
	; wave barrier
	s_waitcnt lgkmcnt(0)
	s_and_saveexec_b64 s[20:21], s[16:17]
	s_cbranch_execz .LBB31_126
; %bb.99:
	s_movk_i32 s18, 0x1a4
	v_mov_b32_e32 v2, 0x1a4
	v_cmp_gt_u32_e32 vcc, s18, v0
	v_subb_co_u32_e64 v2, s[18:19], v2, v0, vcc
	s_mov_b32 s18, 0x4444445
	v_mul_hi_u32 v3, v2, s18
	v_cndmask_b32_e64 v4, 0, 1, vcc
	v_addc_co_u32_e64 v2, s[18:19], 0, v3, vcc
	v_add_u16_e32 v3, v3, v4
	v_lshrrev_b16_e32 v3, 1, v3
	s_mov_b32 s28, 0
	v_add_u32_e32 v3, 1, v3
	v_cmp_lt_u32_e32 vcc, 5, v2
	s_and_saveexec_b64 s[22:23], vcc
	s_cbranch_execz .LBB31_119
; %bb.100:
	v_and_b32_e32 v4, 0xfffc, v3
	v_lshlrev_b32_e32 v6, 2, v0
	s_mov_b64 s[24:25], 0
	v_mov_b32_e32 v7, 0
	s_branch .LBB31_102
.LBB31_101:                             ;   in Loop: Header=BB31_102 Depth=1
	s_or_b64 exec, exec, s[18:19]
	v_add_u32_e32 v4, -4, v4
	s_add_i32 s18, s28, 8
	v_cmp_eq_u32_e32 vcc, 0, v4
	s_add_i32 s28, s29, 2
	v_add_u32_e32 v6, 0x780, v6
	s_or_b64 s[24:25], vcc, s[24:25]
	v_mov_b32_e32 v5, s18
	s_andn2_b64 exec, exec, s[24:25]
	s_cbranch_execz .LBB31_118
.LBB31_102:                             ; =>This Inner Loop Header: Depth=1
	s_or_b32 s18, s28, 1
	v_cmp_le_u32_e32 vcc, s18, v2
	v_cmp_le_u32_e64 s[18:19], s28, v2
	s_and_saveexec_b64 s[26:27], s[18:19]
	s_cbranch_execz .LBB31_104
; %bb.103:                              ;   in Loop: Header=BB31_102 Depth=1
	ds_write_b32 v6, v7
.LBB31_104:                             ;   in Loop: Header=BB31_102 Depth=1
	s_or_b64 exec, exec, s[26:27]
	s_and_saveexec_b64 s[18:19], vcc
	s_cbranch_execz .LBB31_106
; %bb.105:                              ;   in Loop: Header=BB31_102 Depth=1
	ds_write_b32 v6, v7 offset:240
.LBB31_106:                             ;   in Loop: Header=BB31_102 Depth=1
	s_or_b64 exec, exec, s[18:19]
	s_add_i32 s29, s28, 2
	s_add_i32 s18, s28, 3
	v_cmp_le_u32_e32 vcc, s18, v2
	v_cmp_le_u32_e64 s[18:19], s29, v2
	s_and_saveexec_b64 s[26:27], s[18:19]
	s_cbranch_execz .LBB31_108
; %bb.107:                              ;   in Loop: Header=BB31_102 Depth=1
	ds_write_b32 v6, v7 offset:480
.LBB31_108:                             ;   in Loop: Header=BB31_102 Depth=1
	s_or_b64 exec, exec, s[26:27]
	s_and_saveexec_b64 s[18:19], vcc
	s_cbranch_execz .LBB31_110
; %bb.109:                              ;   in Loop: Header=BB31_102 Depth=1
	ds_write_b32 v6, v7 offset:720
.LBB31_110:                             ;   in Loop: Header=BB31_102 Depth=1
	s_or_b64 exec, exec, s[18:19]
	s_add_i32 s30, s29, 2
	s_add_i32 s29, s29, 3
	v_cmp_le_u32_e32 vcc, s29, v2
	v_cmp_le_u32_e64 s[18:19], s30, v2
	s_and_saveexec_b64 s[26:27], s[18:19]
	s_cbranch_execz .LBB31_112
; %bb.111:                              ;   in Loop: Header=BB31_102 Depth=1
	ds_write_b32 v6, v7 offset:960
.LBB31_112:                             ;   in Loop: Header=BB31_102 Depth=1
	s_or_b64 exec, exec, s[26:27]
	s_and_saveexec_b64 s[18:19], vcc
	s_cbranch_execz .LBB31_114
; %bb.113:                              ;   in Loop: Header=BB31_102 Depth=1
	ds_write_b32 v6, v7 offset:1200
.LBB31_114:                             ;   in Loop: Header=BB31_102 Depth=1
	s_or_b64 exec, exec, s[18:19]
	s_add_i32 s29, s30, 2
	s_add_i32 s30, s30, 3
	v_cmp_le_u32_e32 vcc, s30, v2
	v_cmp_le_u32_e64 s[18:19], s29, v2
	s_and_saveexec_b64 s[26:27], s[18:19]
	s_cbranch_execz .LBB31_116
; %bb.115:                              ;   in Loop: Header=BB31_102 Depth=1
	ds_write_b32 v6, v7 offset:1440
.LBB31_116:                             ;   in Loop: Header=BB31_102 Depth=1
	s_or_b64 exec, exec, s[26:27]
	s_and_saveexec_b64 s[18:19], vcc
	s_cbranch_execz .LBB31_101
; %bb.117:                              ;   in Loop: Header=BB31_102 Depth=1
	ds_write_b32 v6, v7 offset:1680
	s_branch .LBB31_101
.LBB31_118:
	s_or_b64 exec, exec, s[24:25]
.LBB31_119:
	s_or_b64 exec, exec, s[22:23]
	v_and_b32_e32 v4, 3, v3
	v_cmp_ne_u32_e32 vcc, 0, v4
	s_and_b64 exec, exec, vcc
	s_cbranch_execz .LBB31_126
; %bb.120:
	s_movk_i32 s18, 0xf0
	v_mul_lo_u32 v3, v5, s18
	v_lshl_add_u32 v3, v0, 2, v3
	v_mul_u32_u24_e32 v4, 0xf0, v4
	s_mov_b64 s[22:23], 0
	v_mov_b32_e32 v6, 0
	s_branch .LBB31_122
.LBB31_121:                             ;   in Loop: Header=BB31_122 Depth=1
	s_or_b64 exec, exec, s[18:19]
	v_add_u32_e32 v4, 0xffffff10, v4
	v_cmp_eq_u32_e32 vcc, 0, v4
	v_add_u32_e32 v5, 2, v5
	s_or_b64 s[22:23], vcc, s[22:23]
	v_add_u32_e32 v3, 0x1e0, v3
	s_andn2_b64 exec, exec, s[22:23]
	s_cbranch_execz .LBB31_126
.LBB31_122:                             ; =>This Inner Loop Header: Depth=1
	v_or_b32_e32 v7, 1, v5
	v_cmp_le_u32_e32 vcc, v7, v2
	v_cmp_le_u32_e64 s[18:19], v5, v2
	s_and_saveexec_b64 s[24:25], s[18:19]
	s_cbranch_execz .LBB31_124
; %bb.123:                              ;   in Loop: Header=BB31_122 Depth=1
	ds_write_b32 v3, v6
.LBB31_124:                             ;   in Loop: Header=BB31_122 Depth=1
	s_or_b64 exec, exec, s[24:25]
	s_and_saveexec_b64 s[18:19], vcc
	s_cbranch_execz .LBB31_121
; %bb.125:                              ;   in Loop: Header=BB31_122 Depth=1
	ds_write_b32 v3, v6 offset:240
	s_branch .LBB31_121
.LBB31_126:
	s_or_b64 exec, exec, s[20:21]
	v_mov_b32_e32 v2, 7
	v_mov_b32_e32 v3, 2
	v_and_b32_sdwa v2, v16, v2 dst_sel:DWORD dst_unused:UNUSED_PAD src0_sel:BYTE_1 src1_sel:DWORD
	v_lshrrev_b32_sdwa v3, v3, v16 dst_sel:DWORD dst_unused:UNUSED_PAD src0_sel:DWORD src1_sel:BYTE_1
	v_mad_u32_u24 v2, v2, 60, v0
	v_and_b32_e32 v3, 2, v3
	v_lshl_or_b32 v21, v2, 2, v3
	ds_read_u16 v22, v21
	s_waitcnt lgkmcnt(0)
	v_add_u16_e32 v2, 1, v22
	ds_write_b16 v21, v2
	s_waitcnt lgkmcnt(0)
	; wave barrier
	s_waitcnt lgkmcnt(0)
	ds_read2_b64 v[6:9], v19 offset1:1
	ds_read2_b64 v[2:5], v19 offset0:2 offset1:3
	s_waitcnt lgkmcnt(1)
	v_add_u32_e32 v23, v7, v6
	v_add3_u32 v23, v23, v8, v9
	s_waitcnt lgkmcnt(0)
	v_add3_u32 v23, v23, v2, v3
	v_add3_u32 v5, v23, v4, v5
	s_nop 1
	v_mov_b32_dpp v23, v5 row_shr:1 row_mask:0xf bank_mask:0xf
	v_cndmask_b32_e64 v23, v23, 0, s[14:15]
	v_add_u32_e32 v5, v23, v5
	s_nop 1
	v_mov_b32_dpp v23, v5 row_shr:2 row_mask:0xf bank_mask:0xf
	v_cndmask_b32_e64 v23, 0, v23, s[12:13]
	v_add_u32_e32 v5, v5, v23
	;; [unrolled: 4-line block ×4, first 2 shown]
	s_nop 1
	v_mov_b32_dpp v23, v5 row_bcast:15 row_mask:0xf bank_mask:0xf
	v_cndmask_b32_e64 v23, v23, 0, s[6:7]
	v_add_u32_e32 v5, v5, v23
	s_nop 1
	v_mov_b32_dpp v23, v5 row_bcast:31 row_mask:0xf bank_mask:0xf
	v_cndmask_b32_e64 v23, 0, v23, s[4:5]
	v_add_u32_e32 v5, v5, v23
	s_and_saveexec_b64 s[18:19], s[2:3]
	s_cbranch_execz .LBB31_128
; %bb.127:
	v_mov_b32_e32 v23, 0
	ds_write_b32 v23, v5 offset:1920
.LBB31_128:
	s_or_b64 exec, exec, s[18:19]
	ds_bpermute_b32 v23, v20, v5
	v_mov_b32_e32 v5, 0
	s_waitcnt lgkmcnt(0)
	; wave barrier
	s_waitcnt lgkmcnt(0)
	ds_read_b32 v24, v5 offset:1920
	v_cndmask_b32_e64 v23, v23, 0, s[0:1]
	s_waitcnt lgkmcnt(0)
	v_lshl_add_u32 v24, v24, 16, v23
	v_add_u32_e32 v25, v24, v6
	v_add_u32_e32 v6, v25, v7
	;; [unrolled: 1-line block ×7, first 2 shown]
	ds_write2_b64 v19, v[24:25], v[6:7] offset1:1
	ds_write2_b64 v19, v[8:9], v[2:3] offset0:2 offset1:3
	s_waitcnt lgkmcnt(0)
	; wave barrier
	s_waitcnt lgkmcnt(0)
	ds_read_u16 v2, v21
	s_waitcnt lgkmcnt(0)
	; wave barrier
	s_waitcnt lgkmcnt(0)
	v_add_u32_sdwa v2, v2, v22 dst_sel:DWORD dst_unused:UNUSED_PAD src0_sel:DWORD src1_sel:WORD_0
	v_lshlrev_b32_e32 v3, 1, v2
	v_mad_u32_u24 v2, v2, 6, v3
	ds_write_b16 v3, v16
	s_waitcnt lgkmcnt(0)
	; wave barrier
	s_waitcnt lgkmcnt(0)
	ds_read_u16 v16, v18
	s_waitcnt lgkmcnt(0)
	; wave barrier
	s_waitcnt lgkmcnt(0)
	ds_write_b64 v2, v[14:15]
	s_waitcnt lgkmcnt(0)
	; wave barrier
	s_waitcnt lgkmcnt(0)
	ds_read_b64 v[8:9], v1
	s_waitcnt lgkmcnt(0)
	; wave barrier
	s_waitcnt lgkmcnt(0)
	s_and_saveexec_b64 s[18:19], s[16:17]
	s_cbranch_execz .LBB31_156
; %bb.129:
	s_movk_i32 s16, 0x1a4
	v_mov_b32_e32 v1, 0x1a4
	v_cmp_gt_u32_e32 vcc, s16, v0
	v_subb_co_u32_e64 v1, s[16:17], v1, v0, vcc
	s_mov_b32 s16, 0x4444445
	v_mul_hi_u32 v2, v1, s16
	v_cndmask_b32_e64 v3, 0, 1, vcc
	v_addc_co_u32_e64 v1, s[16:17], 0, v2, vcc
	v_add_u16_e32 v2, v2, v3
	v_lshrrev_b16_e32 v2, 1, v2
	s_mov_b32 s26, 0
	v_add_u32_e32 v2, 1, v2
	v_cmp_lt_u32_e32 vcc, 5, v1
	s_and_saveexec_b64 s[20:21], vcc
	s_cbranch_execz .LBB31_149
; %bb.130:
	v_and_b32_e32 v3, 0xfffc, v2
	v_lshlrev_b32_e32 v4, 2, v0
	s_mov_b64 s[22:23], 0
	v_mov_b32_e32 v6, 0
	s_branch .LBB31_132
.LBB31_131:                             ;   in Loop: Header=BB31_132 Depth=1
	s_or_b64 exec, exec, s[16:17]
	v_add_u32_e32 v3, -4, v3
	s_add_i32 s16, s26, 8
	v_cmp_eq_u32_e32 vcc, 0, v3
	s_add_i32 s26, s27, 2
	v_add_u32_e32 v4, 0x780, v4
	s_or_b64 s[22:23], vcc, s[22:23]
	v_mov_b32_e32 v5, s16
	s_andn2_b64 exec, exec, s[22:23]
	s_cbranch_execz .LBB31_148
.LBB31_132:                             ; =>This Inner Loop Header: Depth=1
	s_or_b32 s16, s26, 1
	v_cmp_le_u32_e32 vcc, s16, v1
	v_cmp_le_u32_e64 s[16:17], s26, v1
	s_and_saveexec_b64 s[24:25], s[16:17]
	s_cbranch_execz .LBB31_134
; %bb.133:                              ;   in Loop: Header=BB31_132 Depth=1
	ds_write_b32 v4, v6
.LBB31_134:                             ;   in Loop: Header=BB31_132 Depth=1
	s_or_b64 exec, exec, s[24:25]
	s_and_saveexec_b64 s[16:17], vcc
	s_cbranch_execz .LBB31_136
; %bb.135:                              ;   in Loop: Header=BB31_132 Depth=1
	ds_write_b32 v4, v6 offset:240
.LBB31_136:                             ;   in Loop: Header=BB31_132 Depth=1
	s_or_b64 exec, exec, s[16:17]
	s_add_i32 s27, s26, 2
	s_add_i32 s16, s26, 3
	v_cmp_le_u32_e32 vcc, s16, v1
	v_cmp_le_u32_e64 s[16:17], s27, v1
	s_and_saveexec_b64 s[24:25], s[16:17]
	s_cbranch_execz .LBB31_138
; %bb.137:                              ;   in Loop: Header=BB31_132 Depth=1
	ds_write_b32 v4, v6 offset:480
.LBB31_138:                             ;   in Loop: Header=BB31_132 Depth=1
	s_or_b64 exec, exec, s[24:25]
	s_and_saveexec_b64 s[16:17], vcc
	s_cbranch_execz .LBB31_140
; %bb.139:                              ;   in Loop: Header=BB31_132 Depth=1
	ds_write_b32 v4, v6 offset:720
.LBB31_140:                             ;   in Loop: Header=BB31_132 Depth=1
	s_or_b64 exec, exec, s[16:17]
	s_add_i32 s28, s27, 2
	s_add_i32 s27, s27, 3
	v_cmp_le_u32_e32 vcc, s27, v1
	v_cmp_le_u32_e64 s[16:17], s28, v1
	s_and_saveexec_b64 s[24:25], s[16:17]
	s_cbranch_execz .LBB31_142
; %bb.141:                              ;   in Loop: Header=BB31_132 Depth=1
	ds_write_b32 v4, v6 offset:960
.LBB31_142:                             ;   in Loop: Header=BB31_132 Depth=1
	;; [unrolled: 16-line block ×3, first 2 shown]
	s_or_b64 exec, exec, s[24:25]
	s_and_saveexec_b64 s[16:17], vcc
	s_cbranch_execz .LBB31_131
; %bb.147:                              ;   in Loop: Header=BB31_132 Depth=1
	ds_write_b32 v4, v6 offset:1680
	s_branch .LBB31_131
.LBB31_148:
	s_or_b64 exec, exec, s[22:23]
.LBB31_149:
	s_or_b64 exec, exec, s[20:21]
	v_and_b32_e32 v3, 3, v2
	v_cmp_ne_u32_e32 vcc, 0, v3
	s_and_b64 exec, exec, vcc
	s_cbranch_execz .LBB31_156
; %bb.150:
	s_movk_i32 s16, 0xf0
	v_mul_lo_u32 v2, v5, s16
	v_lshl_add_u32 v2, v0, 2, v2
	v_mul_u32_u24_e32 v3, 0xf0, v3
	s_mov_b64 s[20:21], 0
	v_mov_b32_e32 v4, 0
	s_branch .LBB31_152
.LBB31_151:                             ;   in Loop: Header=BB31_152 Depth=1
	s_or_b64 exec, exec, s[16:17]
	v_add_u32_e32 v3, 0xffffff10, v3
	v_cmp_eq_u32_e32 vcc, 0, v3
	v_add_u32_e32 v5, 2, v5
	s_or_b64 s[20:21], vcc, s[20:21]
	v_add_u32_e32 v2, 0x1e0, v2
	s_andn2_b64 exec, exec, s[20:21]
	s_cbranch_execz .LBB31_156
.LBB31_152:                             ; =>This Inner Loop Header: Depth=1
	v_or_b32_e32 v6, 1, v5
	v_cmp_le_u32_e32 vcc, v6, v1
	v_cmp_le_u32_e64 s[16:17], v5, v1
	s_and_saveexec_b64 s[22:23], s[16:17]
	s_cbranch_execz .LBB31_154
; %bb.153:                              ;   in Loop: Header=BB31_152 Depth=1
	ds_write_b32 v2, v4
.LBB31_154:                             ;   in Loop: Header=BB31_152 Depth=1
	s_or_b64 exec, exec, s[22:23]
	s_and_saveexec_b64 s[16:17], vcc
	s_cbranch_execz .LBB31_151
; %bb.155:                              ;   in Loop: Header=BB31_152 Depth=1
	ds_write_b32 v2, v4 offset:240
	s_branch .LBB31_151
.LBB31_156:
	s_or_b64 exec, exec, s[18:19]
	v_lshrrev_b16_e32 v1, 12, v16
	v_and_b32_e32 v2, 7, v1
	v_lshrrev_b32_e32 v1, 2, v1
	v_mad_u32_u24 v0, v2, 60, v0
	v_and_b32_e32 v1, 2, v1
	v_lshl_or_b32 v14, v0, 2, v1
	ds_read_u16 v15, v14
	s_waitcnt lgkmcnt(0)
	v_add_u16_e32 v0, 1, v15
	ds_write_b16 v14, v0
	s_waitcnt lgkmcnt(0)
	; wave barrier
	s_waitcnt lgkmcnt(0)
	ds_read2_b64 v[4:7], v19 offset1:1
	ds_read2_b64 v[0:3], v19 offset0:2 offset1:3
	s_waitcnt lgkmcnt(1)
	v_add_u32_e32 v21, v5, v4
	v_add3_u32 v21, v21, v6, v7
	s_waitcnt lgkmcnt(0)
	v_add3_u32 v21, v21, v0, v1
	v_add3_u32 v3, v21, v2, v3
	s_nop 1
	v_mov_b32_dpp v21, v3 row_shr:1 row_mask:0xf bank_mask:0xf
	v_cndmask_b32_e64 v21, v21, 0, s[14:15]
	v_add_u32_e32 v3, v21, v3
	s_nop 1
	v_mov_b32_dpp v21, v3 row_shr:2 row_mask:0xf bank_mask:0xf
	v_cndmask_b32_e64 v21, 0, v21, s[12:13]
	v_add_u32_e32 v3, v3, v21
	;; [unrolled: 4-line block ×4, first 2 shown]
	s_nop 1
	v_mov_b32_dpp v21, v3 row_bcast:15 row_mask:0xf bank_mask:0xf
	v_cndmask_b32_e64 v21, v21, 0, s[6:7]
	v_add_u32_e32 v3, v3, v21
	s_nop 1
	v_mov_b32_dpp v21, v3 row_bcast:31 row_mask:0xf bank_mask:0xf
	v_cndmask_b32_e64 v21, 0, v21, s[4:5]
	v_add_u32_e32 v3, v3, v21
	s_and_saveexec_b64 s[4:5], s[2:3]
	s_cbranch_execz .LBB31_158
; %bb.157:
	v_mov_b32_e32 v21, 0
	ds_write_b32 v21, v3 offset:1920
.LBB31_158:
	s_or_b64 exec, exec, s[4:5]
	ds_bpermute_b32 v3, v20, v3
	v_mov_b32_e32 v20, 0
	s_waitcnt lgkmcnt(0)
	; wave barrier
	s_waitcnt lgkmcnt(0)
	ds_read_b32 v20, v20 offset:1920
	v_cndmask_b32_e64 v3, v3, 0, s[0:1]
	s_waitcnt lgkmcnt(0)
	v_lshl_add_u32 v20, v20, 16, v3
	v_add_u32_e32 v21, v20, v4
	v_add_u32_e32 v4, v21, v5
	;; [unrolled: 1-line block ×7, first 2 shown]
	ds_write2_b64 v19, v[20:21], v[4:5] offset1:1
	ds_write2_b64 v19, v[6:7], v[0:1] offset0:2 offset1:3
	s_waitcnt lgkmcnt(0)
	; wave barrier
	s_waitcnt lgkmcnt(0)
	ds_read_u16 v0, v14
	s_waitcnt lgkmcnt(0)
	; wave barrier
	s_waitcnt lgkmcnt(0)
	v_add_u32_sdwa v0, v0, v15 dst_sel:DWORD dst_unused:UNUSED_PAD src0_sel:DWORD src1_sel:WORD_0
	v_lshlrev_b32_e32 v2, 1, v0
	ds_write_b16 v2, v16
	s_waitcnt lgkmcnt(0)
	; wave barrier
	s_waitcnt lgkmcnt(0)
	ds_read_u16 v1, v18
	v_mad_u32_u24 v0, v0, 6, v2
	s_waitcnt lgkmcnt(0)
	; wave barrier
	s_waitcnt lgkmcnt(0)
	ds_write_b64 v0, v[8:9]
	s_waitcnt lgkmcnt(0)
	; wave barrier
.LBB31_159:
	v_add_u32_e32 v0, v18, v17
	s_waitcnt lgkmcnt(0)
	ds_read_b64 v[2:3], v0
	v_xor_b32_e32 v0, -1, v1
	global_store_short v[10:11], v0, off
	s_waitcnt lgkmcnt(0)
	global_store_dwordx2 v[12:13], v[2:3], off
	s_endpgm
	.section	.rodata,"a",@progbits
	.p2align	6, 0x0
	.amdhsa_kernel _Z21sort_key_value_kernelILj60ELj1ELb0ELb1EtdEvPT3_PT4_jj
		.amdhsa_group_segment_fixed_size 1936
		.amdhsa_private_segment_fixed_size 0
		.amdhsa_kernarg_size 24
		.amdhsa_user_sgpr_count 6
		.amdhsa_user_sgpr_private_segment_buffer 1
		.amdhsa_user_sgpr_dispatch_ptr 0
		.amdhsa_user_sgpr_queue_ptr 0
		.amdhsa_user_sgpr_kernarg_segment_ptr 1
		.amdhsa_user_sgpr_dispatch_id 0
		.amdhsa_user_sgpr_flat_scratch_init 0
		.amdhsa_user_sgpr_kernarg_preload_length 0
		.amdhsa_user_sgpr_kernarg_preload_offset 0
		.amdhsa_user_sgpr_private_segment_size 0
		.amdhsa_uses_dynamic_stack 0
		.amdhsa_system_sgpr_private_segment_wavefront_offset 0
		.amdhsa_system_sgpr_workgroup_id_x 1
		.amdhsa_system_sgpr_workgroup_id_y 0
		.amdhsa_system_sgpr_workgroup_id_z 0
		.amdhsa_system_sgpr_workgroup_info 0
		.amdhsa_system_vgpr_workitem_id 0
		.amdhsa_next_free_vgpr 34
		.amdhsa_next_free_sgpr 41
		.amdhsa_accum_offset 36
		.amdhsa_reserve_vcc 1
		.amdhsa_reserve_flat_scratch 0
		.amdhsa_float_round_mode_32 0
		.amdhsa_float_round_mode_16_64 0
		.amdhsa_float_denorm_mode_32 3
		.amdhsa_float_denorm_mode_16_64 3
		.amdhsa_dx10_clamp 1
		.amdhsa_ieee_mode 1
		.amdhsa_fp16_overflow 0
		.amdhsa_tg_split 0
		.amdhsa_exception_fp_ieee_invalid_op 0
		.amdhsa_exception_fp_denorm_src 0
		.amdhsa_exception_fp_ieee_div_zero 0
		.amdhsa_exception_fp_ieee_overflow 0
		.amdhsa_exception_fp_ieee_underflow 0
		.amdhsa_exception_fp_ieee_inexact 0
		.amdhsa_exception_int_div_zero 0
	.end_amdhsa_kernel
	.section	.text._Z21sort_key_value_kernelILj60ELj1ELb0ELb1EtdEvPT3_PT4_jj,"axG",@progbits,_Z21sort_key_value_kernelILj60ELj1ELb0ELb1EtdEvPT3_PT4_jj,comdat
.Lfunc_end31:
	.size	_Z21sort_key_value_kernelILj60ELj1ELb0ELb1EtdEvPT3_PT4_jj, .Lfunc_end31-_Z21sort_key_value_kernelILj60ELj1ELb0ELb1EtdEvPT3_PT4_jj
                                        ; -- End function
	.section	.AMDGPU.csdata,"",@progbits
; Kernel info:
; codeLenInByte = 5676
; NumSgprs: 45
; NumVgprs: 34
; NumAgprs: 0
; TotalNumVgprs: 34
; ScratchSize: 0
; MemoryBound: 0
; FloatMode: 240
; IeeeMode: 1
; LDSByteSize: 1936 bytes/workgroup (compile time only)
; SGPRBlocks: 5
; VGPRBlocks: 4
; NumSGPRsForWavesPerEU: 45
; NumVGPRsForWavesPerEU: 34
; AccumOffset: 36
; Occupancy: 8
; WaveLimiterHint : 0
; COMPUTE_PGM_RSRC2:SCRATCH_EN: 0
; COMPUTE_PGM_RSRC2:USER_SGPR: 6
; COMPUTE_PGM_RSRC2:TRAP_HANDLER: 0
; COMPUTE_PGM_RSRC2:TGID_X_EN: 1
; COMPUTE_PGM_RSRC2:TGID_Y_EN: 0
; COMPUTE_PGM_RSRC2:TGID_Z_EN: 0
; COMPUTE_PGM_RSRC2:TIDIG_COMP_CNT: 0
; COMPUTE_PGM_RSRC3_GFX90A:ACCUM_OFFSET: 8
; COMPUTE_PGM_RSRC3_GFX90A:TG_SPLIT: 0
	.section	.text._Z21sort_key_value_kernelILj512ELj2ELb1ELb0EhiEvPT3_PT4_jj,"axG",@progbits,_Z21sort_key_value_kernelILj512ELj2ELb1ELb0EhiEvPT3_PT4_jj,comdat
	.protected	_Z21sort_key_value_kernelILj512ELj2ELb1ELb0EhiEvPT3_PT4_jj ; -- Begin function _Z21sort_key_value_kernelILj512ELj2ELb1ELb0EhiEvPT3_PT4_jj
	.globl	_Z21sort_key_value_kernelILj512ELj2ELb1ELb0EhiEvPT3_PT4_jj
	.p2align	8
	.type	_Z21sort_key_value_kernelILj512ELj2ELb1ELb0EhiEvPT3_PT4_jj,@function
_Z21sort_key_value_kernelILj512ELj2ELb1ELb0EhiEvPT3_PT4_jj: ; @_Z21sort_key_value_kernelILj512ELj2ELb1ELb0EhiEvPT3_PT4_jj
; %bb.0:
	s_load_dwordx4 s[0:3], s[4:5], 0x0
	s_load_dwordx2 s[40:41], s[4:5], 0x10
	s_lshl_b32 s34, s6, 10
	s_mov_b32 s35, 0
	v_and_b32_e32 v4, 0x3ff, v0
	s_waitcnt lgkmcnt(0)
	s_add_u32 s36, s0, s34
	s_addc_u32 s37, s1, 0
	s_lshl_b64 s[0:1], s[34:35], 2
	v_lshlrev_b32_e32 v1, 1, v4
	s_add_u32 s38, s2, s0
	global_load_ushort v2, v1, s[36:37]
	s_addc_u32 s39, s3, s1
	v_lshlrev_b32_e32 v3, 3, v4
	global_load_dwordx2 v[6:7], v3, s[38:39]
	v_mbcnt_lo_u32_b32 v3, -1, 0
	v_mbcnt_hi_u32_b32 v5, -1, v3
	s_cmp_lg_u32 s40, 0
	v_bfe_u32 v21, v0, 10, 10
	v_bfe_u32 v22, v0, 20, 10
	v_lshrrev_b32_e32 v0, 1, v5
	s_cselect_b64 s[12:13], -1, 0
	s_cmp_lg_u32 s41, 8
	v_and_or_b32 v0, v5, 64, v0
	s_cselect_b64 s[14:15], -1, 0
	v_and_b32_e32 v3, 1, v5
	v_lshlrev_b32_e32 v25, 2, v0
	s_or_b64 s[12:13], s[12:13], s[14:15]
	v_lshlrev_b32_e32 v16, 4, v4
	v_and_b32_e32 v19, 15, v5
	v_cmp_lt_u32_e64 s[2:3], 31, v5
	v_cmp_gt_u32_e64 s[6:7], 8, v4
	v_cmp_lt_u32_e64 s[8:9], 63, v4
	v_add_u32_e32 v17, -1, v5
	v_and_b32_e32 v18, 64, v5
	v_cmp_eq_u32_e64 s[10:11], 0, v5
	v_lshrrev_b32_e32 v20, 4, v4
	v_cmp_eq_u32_e64 s[0:1], 0, v3
	v_xor_b32_e32 v24, 0x80, v25
	s_and_b64 vcc, exec, s[12:13]
	s_waitcnt vmcnt(1)
	v_and_b32_e32 v27, 0xff, v2
	v_lshrrev_b16_e32 v26, 8, v2
	s_cbranch_vccz .LBB32_16
; %bb.1:
	ds_bpermute_b32 v0, v25, v27
	ds_bpermute_b32 v2, v25, v26
	;; [unrolled: 1-line block ×4, first 2 shown]
	s_waitcnt lgkmcnt(0)
	v_and_b32_e32 v0, 0xff, v0
	v_and_b32_e32 v2, 0xff, v2
	v_cndmask_b32_e64 v0, v2, v0, s[0:1]
	v_lshlrev_b16_e32 v3, 8, v3
	v_or_b32_e32 v0, v0, v3
	s_barrier
	s_load_dword s12, s[4:5], 0x24
	v_cndmask_b32_e64 v2, v2, v0, s[0:1]
	v_lshlrev_b16_e32 v3, 8, v8
	v_or_b32_sdwa v2, v2, v3 dst_sel:DWORD dst_unused:UNUSED_PAD src0_sel:BYTE_0 src1_sel:DWORD
	s_waitcnt vmcnt(0)
	ds_bpermute_b32 v3, v25, v6
	ds_bpermute_b32 v8, v25, v7
	v_cndmask_b32_e64 v0, v2, v0, s[0:1]
	s_waitcnt lgkmcnt(0)
	s_lshr_b32 s13, s12, 16
	v_and_b32_e32 v29, 0xffff, v0
	s_and_b32 s12, s12, 0xffff
	v_mad_u32_u24 v0, v22, s13, v21
	v_cndmask_b32_e64 v14, v8, v3, s[0:1]
	v_mad_u64_u32 v[2:3], s[12:13], v0, s12, v[4:5]
	v_and_b32_e32 v0, 16, v5
	v_cmp_eq_u32_e64 s[20:21], 0, v0
	v_and_b32_e32 v0, 0x3c0, v4
	ds_bpermute_b32 v9, v24, v6
	ds_bpermute_b32 v10, v24, v7
	v_min_u32_e32 v0, 0x1c0, v0
	v_or_b32_e32 v0, 63, v0
	v_cmp_lt_i32_e32 vcc, v17, v18
	v_cmp_eq_u32_e64 s[22:23], v0, v4
	v_cndmask_b32_e32 v0, v17, v5, vcc
	s_movk_i32 s33, 0x780
	v_lshlrev_b32_e32 v30, 2, v0
	v_and_b32_e32 v0, 7, v5
	v_and_or_b32 v35, v1, s33, v5
	v_and_b32_e32 v31, 60, v20
	v_cmp_eq_u32_e64 s[26:27], 0, v0
	v_cmp_lt_u32_e64 s[28:29], 1, v0
	v_cmp_lt_u32_e64 s[30:31], 3, v0
	v_mul_u32_u24_e32 v0, 3, v35
	s_mov_b32 s34, s35
	s_mov_b32 s42, s35
	;; [unrolled: 1-line block ×3, first 2 shown]
	s_waitcnt lgkmcnt(0)
	v_cndmask_b32_e64 v15, v10, v9, s[0:1]
	v_lshrrev_b32_e32 v28, 6, v2
	v_cmp_eq_u32_e64 s[12:13], 0, v19
	v_cmp_lt_u32_e64 s[14:15], 1, v19
	v_cmp_lt_u32_e64 s[16:17], 3, v19
	;; [unrolled: 1-line block ×3, first 2 shown]
	v_cmp_eq_u32_e64 s[24:25], 0, v4
	v_mad_i32_i24 v23, v4, -12, v16
	v_add_u32_e32 v34, -4, v31
	s_sub_i32 s33, s41, s40
	v_pk_mov_b32 v[8:9], s[34:35], s[34:35] op_sel:[0,1]
	v_pk_mov_b32 v[10:11], s[42:43], s[42:43] op_sel:[0,1]
	v_add_u32_e32 v36, v35, v0
	v_mov_b32_e32 v12, 0
	s_branch .LBB32_3
.LBB32_2:                               ;   in Loop: Header=BB32_3 Depth=1
	s_barrier
	ds_write_b8 v2, v29
	ds_write_b8 v0, v37
	s_waitcnt lgkmcnt(0)
	s_barrier
	ds_read_u8 v3, v35 offset:64
	ds_read_u8 v13, v35
	s_waitcnt lgkmcnt(0)
	s_barrier
	v_lshlrev_b16_e32 v3, 8, v3
	v_or_b32_e32 v3, v13, v3
	v_mad_u64_u32 v[14:15], s[34:35], v2, 3, v[2:3]
	ds_write_b32 v14, v33
	v_mad_u64_u32 v[14:15], s[34:35], v0, 3, v[0:1]
	ds_write_b32 v14, v32
	s_waitcnt lgkmcnt(0)
	s_barrier
	ds_read2st64_b32 v[14:15], v36 offset1:1
	v_and_b32_e32 v29, 0xffff, v3
	s_add_i32 s33, s33, -8
	s_waitcnt lgkmcnt(0)
	s_barrier
	s_cbranch_execz .LBB32_15
.LBB32_3:                               ; =>This Inner Loop Header: Depth=1
	s_min_u32 s34, s33, 8
	s_lshl_b32 s34, -1, s34
	s_not_b32 s42, s34
	v_lshrrev_b32_sdwa v0, s40, v29 dst_sel:DWORD dst_unused:UNUSED_PAD src0_sel:DWORD src1_sel:BYTE_0
	v_and_b32_e32 v0, s42, v0
	v_lshl_add_u32 v1, v0, 3, v28
	v_mov_b32_e32 v33, v14
	v_lshl_add_u32 v14, v1, 2, 32
	v_and_b32_e32 v1, 1, v0
	v_add_co_u32_e32 v2, vcc, -1, v1
	v_addc_co_u32_e64 v3, s[34:35], 0, -1, vcc
	v_cmp_ne_u32_e32 vcc, 0, v1
	v_lshlrev_b32_e32 v13, 30, v0
	v_xor_b32_e32 v1, vcc_hi, v3
	v_not_b32_e32 v3, v13
	v_xor_b32_e32 v2, vcc_lo, v2
	v_cmp_gt_i64_e32 vcc, 0, v[12:13]
	v_ashrrev_i32_e32 v3, 31, v3
	v_and_b32_e32 v1, exec_hi, v1
	v_xor_b32_e32 v13, vcc_hi, v3
	v_and_b32_e32 v2, exec_lo, v2
	v_xor_b32_e32 v3, vcc_lo, v3
	v_and_b32_e32 v1, v1, v13
	v_lshlrev_b32_e32 v13, 29, v0
	v_and_b32_e32 v2, v2, v3
	v_not_b32_e32 v3, v13
	v_cmp_gt_i64_e32 vcc, 0, v[12:13]
	v_ashrrev_i32_e32 v3, 31, v3
	v_xor_b32_e32 v13, vcc_hi, v3
	v_xor_b32_e32 v3, vcc_lo, v3
	v_and_b32_e32 v1, v1, v13
	v_lshlrev_b32_e32 v13, 28, v0
	v_and_b32_e32 v2, v2, v3
	v_not_b32_e32 v3, v13
	v_cmp_gt_i64_e32 vcc, 0, v[12:13]
	v_ashrrev_i32_e32 v3, 31, v3
	v_xor_b32_e32 v13, vcc_hi, v3
	;; [unrolled: 8-line block ×5, first 2 shown]
	v_and_b32_e32 v1, v1, v13
	v_lshlrev_b32_e32 v13, 24, v0
	v_not_b32_e32 v0, v13
	v_xor_b32_e32 v3, vcc_lo, v3
	v_cmp_gt_i64_e32 vcc, 0, v[12:13]
	v_ashrrev_i32_e32 v0, 31, v0
	v_and_b32_e32 v2, v2, v3
	v_xor_b32_e32 v3, vcc_hi, v0
	v_xor_b32_e32 v0, vcc_lo, v0
	v_and_b32_e32 v0, v2, v0
	v_and_b32_e32 v1, v1, v3
	v_mbcnt_lo_u32_b32 v2, v0, 0
	v_mov_b32_e32 v32, v15
	v_mbcnt_hi_u32_b32 v15, v1, v2
	v_cmp_eq_u32_e32 vcc, 0, v15
	v_cmp_ne_u64_e64 s[34:35], 0, v[0:1]
	s_and_b64 s[44:45], s[34:35], vcc
	ds_write2_b64 v16, v[8:9], v[10:11] offset0:4 offset1:5
	s_waitcnt lgkmcnt(0)
	s_barrier
	s_waitcnt lgkmcnt(0)
	; wave barrier
	s_and_saveexec_b64 s[34:35], s[44:45]
	s_cbranch_execz .LBB32_5
; %bb.4:                                ;   in Loop: Header=BB32_3 Depth=1
	v_bcnt_u32_b32 v0, v0, 0
	v_bcnt_u32_b32 v0, v1, v0
	ds_write_b32 v14, v0
.LBB32_5:                               ;   in Loop: Header=BB32_3 Depth=1
	s_or_b64 exec, exec, s[34:35]
	v_lshrrev_b16_e32 v37, 8, v29
	v_lshrrev_b32_e32 v0, s40, v37
	v_and_b32_e32 v0, s42, v0
	v_lshlrev_b32_e32 v1, 3, v0
	v_add_lshl_u32 v1, v1, v28, 2
	; wave barrier
	v_add_u32_e32 v39, 32, v1
	ds_read_b32 v38, v1 offset:32
	v_and_b32_e32 v1, 1, v0
	v_add_co_u32_e32 v2, vcc, -1, v1
	v_addc_co_u32_e64 v3, s[34:35], 0, -1, vcc
	v_cmp_ne_u32_e32 vcc, 0, v1
	v_lshlrev_b32_e32 v13, 30, v0
	v_xor_b32_e32 v1, vcc_hi, v3
	v_not_b32_e32 v3, v13
	v_xor_b32_e32 v2, vcc_lo, v2
	v_cmp_gt_i64_e32 vcc, 0, v[12:13]
	v_ashrrev_i32_e32 v3, 31, v3
	v_and_b32_e32 v1, exec_hi, v1
	v_xor_b32_e32 v13, vcc_hi, v3
	v_and_b32_e32 v2, exec_lo, v2
	v_xor_b32_e32 v3, vcc_lo, v3
	v_and_b32_e32 v1, v1, v13
	v_lshlrev_b32_e32 v13, 29, v0
	v_and_b32_e32 v2, v2, v3
	v_not_b32_e32 v3, v13
	v_cmp_gt_i64_e32 vcc, 0, v[12:13]
	v_ashrrev_i32_e32 v3, 31, v3
	v_xor_b32_e32 v13, vcc_hi, v3
	v_xor_b32_e32 v3, vcc_lo, v3
	v_and_b32_e32 v1, v1, v13
	v_lshlrev_b32_e32 v13, 28, v0
	v_and_b32_e32 v2, v2, v3
	v_not_b32_e32 v3, v13
	v_cmp_gt_i64_e32 vcc, 0, v[12:13]
	v_ashrrev_i32_e32 v3, 31, v3
	v_xor_b32_e32 v13, vcc_hi, v3
	;; [unrolled: 8-line block ×5, first 2 shown]
	v_and_b32_e32 v1, v1, v13
	v_lshlrev_b32_e32 v13, 24, v0
	v_not_b32_e32 v0, v13
	v_xor_b32_e32 v3, vcc_lo, v3
	v_cmp_gt_i64_e32 vcc, 0, v[12:13]
	v_ashrrev_i32_e32 v0, 31, v0
	v_and_b32_e32 v2, v2, v3
	v_xor_b32_e32 v3, vcc_hi, v0
	v_xor_b32_e32 v0, vcc_lo, v0
	v_and_b32_e32 v0, v2, v0
	v_and_b32_e32 v1, v1, v3
	v_mbcnt_lo_u32_b32 v2, v0, 0
	v_mbcnt_hi_u32_b32 v13, v1, v2
	v_cmp_eq_u32_e32 vcc, 0, v13
	v_cmp_ne_u64_e64 s[34:35], 0, v[0:1]
	s_and_b64 s[42:43], s[34:35], vcc
	; wave barrier
	s_and_saveexec_b64 s[34:35], s[42:43]
	s_cbranch_execz .LBB32_7
; %bb.6:                                ;   in Loop: Header=BB32_3 Depth=1
	v_bcnt_u32_b32 v0, v0, 0
	v_bcnt_u32_b32 v0, v1, v0
	s_waitcnt lgkmcnt(0)
	v_add_u32_e32 v0, v38, v0
	ds_write_b32 v39, v0
.LBB32_7:                               ;   in Loop: Header=BB32_3 Depth=1
	s_or_b64 exec, exec, s[34:35]
	; wave barrier
	s_waitcnt lgkmcnt(0)
	s_barrier
	ds_read2_b64 v[0:3], v16 offset0:4 offset1:5
	s_waitcnt lgkmcnt(0)
	v_add_u32_e32 v40, v1, v0
	v_add3_u32 v3, v40, v2, v3
	s_nop 1
	v_mov_b32_dpp v40, v3 row_shr:1 row_mask:0xf bank_mask:0xf
	v_cndmask_b32_e64 v40, v40, 0, s[12:13]
	v_add_u32_e32 v3, v40, v3
	s_nop 1
	v_mov_b32_dpp v40, v3 row_shr:2 row_mask:0xf bank_mask:0xf
	v_cndmask_b32_e64 v40, 0, v40, s[14:15]
	v_add_u32_e32 v3, v3, v40
	;; [unrolled: 4-line block ×4, first 2 shown]
	s_nop 1
	v_mov_b32_dpp v40, v3 row_bcast:15 row_mask:0xf bank_mask:0xf
	v_cndmask_b32_e64 v40, v40, 0, s[20:21]
	v_add_u32_e32 v3, v3, v40
	s_nop 1
	v_mov_b32_dpp v40, v3 row_bcast:31 row_mask:0xf bank_mask:0xf
	v_cndmask_b32_e64 v40, 0, v40, s[2:3]
	v_add_u32_e32 v3, v3, v40
	s_and_saveexec_b64 s[34:35], s[22:23]
	s_cbranch_execz .LBB32_9
; %bb.8:                                ;   in Loop: Header=BB32_3 Depth=1
	ds_write_b32 v31, v3
.LBB32_9:                               ;   in Loop: Header=BB32_3 Depth=1
	s_or_b64 exec, exec, s[34:35]
	s_waitcnt lgkmcnt(0)
	s_barrier
	s_and_saveexec_b64 s[34:35], s[6:7]
	s_cbranch_execz .LBB32_11
; %bb.10:                               ;   in Loop: Header=BB32_3 Depth=1
	ds_read_b32 v40, v23
	s_waitcnt lgkmcnt(0)
	s_nop 0
	v_mov_b32_dpp v41, v40 row_shr:1 row_mask:0xf bank_mask:0xf
	v_cndmask_b32_e64 v41, v41, 0, s[26:27]
	v_add_u32_e32 v40, v41, v40
	s_nop 1
	v_mov_b32_dpp v41, v40 row_shr:2 row_mask:0xf bank_mask:0xf
	v_cndmask_b32_e64 v41, 0, v41, s[28:29]
	v_add_u32_e32 v40, v40, v41
	;; [unrolled: 4-line block ×3, first 2 shown]
	ds_write_b32 v23, v40
.LBB32_11:                              ;   in Loop: Header=BB32_3 Depth=1
	s_or_b64 exec, exec, s[34:35]
	v_mov_b32_e32 v40, 0
	s_waitcnt lgkmcnt(0)
	s_barrier
	s_and_saveexec_b64 s[34:35], s[8:9]
	s_cbranch_execz .LBB32_13
; %bb.12:                               ;   in Loop: Header=BB32_3 Depth=1
	ds_read_b32 v40, v34
.LBB32_13:                              ;   in Loop: Header=BB32_3 Depth=1
	s_or_b64 exec, exec, s[34:35]
	s_waitcnt lgkmcnt(0)
	v_add_u32_e32 v3, v40, v3
	ds_bpermute_b32 v3, v30, v3
	s_add_i32 s40, s40, 8
	s_cmp_ge_u32 s40, s41
	s_waitcnt lgkmcnt(0)
	v_cndmask_b32_e64 v3, v3, v40, s[10:11]
	v_cndmask_b32_e64 v40, v3, 0, s[24:25]
	v_add_u32_e32 v41, v40, v0
	v_add_u32_e32 v0, v41, v1
	;; [unrolled: 1-line block ×3, first 2 shown]
	ds_write2_b64 v16, v[40:41], v[0:1] offset0:4 offset1:5
	s_waitcnt lgkmcnt(0)
	s_barrier
	ds_read_b32 v0, v14
	ds_read_b32 v3, v39
	v_mov_b32_e32 v1, v29
	s_waitcnt lgkmcnt(0)
	v_add_u32_e32 v2, v0, v15
	v_add3_u32 v0, v13, v38, v3
	s_cbranch_scc0 .LBB32_2
; %bb.14:
                                        ; implicit-def: $vgpr15
                                        ; implicit-def: $vgpr29
                                        ; implicit-def: $sgpr33
.LBB32_15:
	s_barrier
	ds_write_b8 v2, v1
	ds_write_b8 v0, v37
	s_waitcnt lgkmcnt(0)
	s_barrier
	ds_read_u8 v3, v4 offset:512
	ds_read_u8 v8, v4
	v_add_u32_e32 v1, 0x200, v4
	s_waitcnt lgkmcnt(0)
	s_barrier
	v_lshlrev_b16_e32 v3, 8, v3
	v_or_b32_e32 v3, v8, v3
	v_and_b32_e32 v3, 0xffff, v3
	v_mad_u64_u32 v[8:9], s[2:3], v2, 3, v[2:3]
	ds_write_b32 v8, v33
	v_mad_u64_u32 v[8:9], s[2:3], v0, 3, v[0:1]
	ds_write_b32 v8, v32
	s_waitcnt lgkmcnt(0)
	s_barrier
	s_branch .LBB32_28
.LBB32_16:
                                        ; implicit-def: $vgpr1
                                        ; implicit-def: $vgpr23
                                        ; implicit-def: $vgpr3
	s_cbranch_execz .LBB32_28
; %bb.17:
	ds_bpermute_b32 v0, v25, v27
	ds_bpermute_b32 v1, v25, v26
	;; [unrolled: 1-line block ×4, first 2 shown]
	s_waitcnt lgkmcnt(0)
	s_barrier
	s_load_dword s2, s[4:5], 0x24
	v_and_b32_e32 v0, 0xff, v0
	v_and_b32_e32 v1, 0xff, v1
	v_cndmask_b32_e64 v0, v1, v0, s[0:1]
	v_lshlrev_b16_e32 v2, 8, v2
	v_or_b32_e32 v0, v0, v2
	v_cndmask_b32_e64 v1, v1, v0, s[0:1]
	v_lshlrev_b16_e32 v2, 8, v3
	v_or_b32_sdwa v1, v1, v2 dst_sel:DWORD dst_unused:UNUSED_PAD src0_sel:BYTE_0 src1_sel:DWORD
	s_waitcnt lgkmcnt(0)
	s_lshr_b32 s3, s2, 16
	v_cndmask_b32_e64 v10, v1, v0, s[0:1]
	s_and_b32 s2, s2, 0xffff
	v_mad_u32_u24 v0, v22, s3, v21
	v_mad_u64_u32 v[0:1], s[2:3], v0, s2, v[4:5]
	s_mov_b32 s2, 0
	s_mov_b32 s3, s2
	;; [unrolled: 1-line block ×4, first 2 shown]
	v_lshrrev_b32_e32 v14, 6, v0
	v_pk_mov_b32 v[0:1], s[2:3], s[2:3] op_sel:[0,1]
	v_pk_mov_b32 v[2:3], s[4:5], s[4:5] op_sel:[0,1]
	ds_write2_b64 v16, v[0:1], v[2:3] offset0:4 offset1:5
	v_and_b32_e32 v1, 1, v10
	v_add_co_u32_e32 v2, vcc, -1, v1
	v_mov_b32_e32 v0, 3
	v_addc_co_u32_e64 v3, s[2:3], 0, -1, vcc
	v_cmp_ne_u32_e32 vcc, 0, v1
	v_lshlrev_b32_sdwa v0, v0, v10 dst_sel:DWORD dst_unused:UNUSED_PAD src0_sel:DWORD src1_sel:BYTE_0
	v_xor_b32_e32 v1, vcc_hi, v3
	v_add_lshl_u32 v11, v14, v0, 2
	v_mov_b32_e32 v0, 0
	v_and_b32_e32 v3, exec_hi, v1
	v_lshlrev_b32_e32 v1, 30, v10
	v_xor_b32_e32 v2, vcc_lo, v2
	v_cmp_gt_i64_e32 vcc, 0, v[0:1]
	v_not_b32_e32 v1, v1
	v_ashrrev_i32_e32 v1, 31, v1
	v_and_b32_e32 v2, exec_lo, v2
	v_xor_b32_e32 v12, vcc_hi, v1
	v_xor_b32_e32 v1, vcc_lo, v1
	v_and_b32_e32 v2, v2, v1
	v_lshlrev_b32_e32 v1, 29, v10
	v_cmp_gt_i64_e32 vcc, 0, v[0:1]
	v_not_b32_e32 v1, v1
	v_ashrrev_i32_e32 v1, 31, v1
	v_and_b32_e32 v3, v3, v12
	v_xor_b32_e32 v12, vcc_hi, v1
	v_xor_b32_e32 v1, vcc_lo, v1
	v_and_b32_e32 v2, v2, v1
	v_lshlrev_b32_e32 v1, 28, v10
	v_cmp_gt_i64_e32 vcc, 0, v[0:1]
	v_not_b32_e32 v1, v1
	v_ashrrev_i32_e32 v1, 31, v1
	v_and_b32_e32 v3, v3, v12
	;; [unrolled: 8-line block ×6, first 2 shown]
	v_xor_b32_e32 v12, vcc_hi, v1
	v_xor_b32_e32 v1, vcc_lo, v1
	s_waitcnt vmcnt(0)
	ds_bpermute_b32 v8, v25, v6
	ds_bpermute_b32 v9, v25, v7
	;; [unrolled: 1-line block ×4, first 2 shown]
	v_and_b32_e32 v2, v2, v1
	v_and_b32_e32 v3, v3, v12
	v_mbcnt_lo_u32_b32 v1, v2, 0
	v_mbcnt_hi_u32_b32 v12, v3, v1
	v_cmp_eq_u32_e32 vcc, 0, v12
	v_cmp_ne_u64_e64 s[2:3], 0, v[2:3]
	v_and_b32_e32 v13, 0x3c0, v4
	s_and_b64 s[4:5], s[2:3], vcc
	s_waitcnt lgkmcnt(0)
	s_barrier
	s_waitcnt lgkmcnt(0)
	; wave barrier
	s_and_saveexec_b64 s[2:3], s[4:5]
	s_cbranch_execz .LBB32_19
; %bb.18:
	v_bcnt_u32_b32 v1, v2, 0
	v_bcnt_u32_b32 v1, v3, v1
	ds_write_b32 v11, v1 offset:32
.LBB32_19:
	s_or_b64 exec, exec, s[2:3]
	v_mov_b32_e32 v1, 8
	v_min_u32_e32 v22, 0x1c0, v13
	v_lshrrev_b16_sdwa v13, v1, v10 dst_sel:DWORD dst_unused:UNUSED_PAD src0_sel:DWORD src1_sel:WORD_0
	v_lshlrev_b32_e32 v1, 3, v13
	v_add_lshl_u32 v15, v14, v1, 2
	v_and_b32_e32 v1, 1, v13
	v_add_co_u32_e32 v2, vcc, -1, v1
	v_addc_co_u32_e64 v3, s[2:3], 0, -1, vcc
	v_cmp_ne_u32_e32 vcc, 0, v1
	v_xor_b32_e32 v1, vcc_hi, v3
	v_and_b32_e32 v3, exec_hi, v1
	v_lshlrev_b32_e32 v1, 30, v13
	v_xor_b32_e32 v2, vcc_lo, v2
	v_cmp_gt_i64_e32 vcc, 0, v[0:1]
	v_not_b32_e32 v1, v1
	v_ashrrev_i32_e32 v1, 31, v1
	v_and_b32_e32 v2, exec_lo, v2
	v_xor_b32_e32 v21, vcc_hi, v1
	v_xor_b32_e32 v1, vcc_lo, v1
	v_and_b32_e32 v2, v2, v1
	v_lshlrev_b32_e32 v1, 29, v13
	v_cmp_gt_i64_e32 vcc, 0, v[0:1]
	v_not_b32_e32 v1, v1
	v_ashrrev_i32_e32 v1, 31, v1
	v_and_b32_e32 v3, v3, v21
	v_xor_b32_e32 v21, vcc_hi, v1
	v_xor_b32_e32 v1, vcc_lo, v1
	v_and_b32_e32 v2, v2, v1
	v_lshlrev_b32_e32 v1, 28, v13
	v_cmp_gt_i64_e32 vcc, 0, v[0:1]
	v_not_b32_e32 v1, v1
	v_ashrrev_i32_e32 v1, 31, v1
	v_and_b32_e32 v3, v3, v21
	;; [unrolled: 8-line block ×5, first 2 shown]
	v_xor_b32_e32 v21, vcc_hi, v1
	v_xor_b32_e32 v1, vcc_lo, v1
	v_and_b32_e32 v2, v2, v1
	v_lshlrev_b32_e32 v1, 24, v13
	v_cmp_gt_i64_e32 vcc, 0, v[0:1]
	v_not_b32_e32 v0, v1
	v_ashrrev_i32_e32 v0, 31, v0
	v_xor_b32_e32 v1, vcc_hi, v0
	v_xor_b32_e32 v0, vcc_lo, v0
	; wave barrier
	ds_read_b32 v14, v15 offset:32
	v_and_b32_e32 v3, v3, v21
	v_and_b32_e32 v0, v2, v0
	;; [unrolled: 1-line block ×3, first 2 shown]
	v_mbcnt_lo_u32_b32 v2, v0, 0
	v_mbcnt_hi_u32_b32 v21, v1, v2
	v_cmp_eq_u32_e32 vcc, 0, v21
	v_cmp_ne_u64_e64 s[2:3], 0, v[0:1]
	s_and_b64 s[4:5], s[2:3], vcc
	; wave barrier
	s_and_saveexec_b64 s[2:3], s[4:5]
	s_cbranch_execz .LBB32_21
; %bb.20:
	v_bcnt_u32_b32 v0, v0, 0
	v_bcnt_u32_b32 v0, v1, v0
	s_waitcnt lgkmcnt(0)
	v_add_u32_e32 v0, v14, v0
	ds_write_b32 v15, v0 offset:32
.LBB32_21:
	s_or_b64 exec, exec, s[2:3]
	; wave barrier
	s_waitcnt lgkmcnt(0)
	s_barrier
	ds_read2_b64 v[0:3], v16 offset0:4 offset1:5
	v_or_b32_e32 v22, 63, v22
	v_cmp_eq_u32_e32 vcc, v22, v4
	v_cmp_ne_u32_e64 s[2:3], 0, v19
	v_bfe_i32 v24, v5, 4, 1
	s_waitcnt lgkmcnt(0)
	v_add_u32_e32 v22, v1, v0
	v_add3_u32 v3, v22, v2, v3
	v_mul_i32_i24_e32 v23, -12, v4
	v_and_b32_e32 v20, 60, v20
	v_mov_b32_dpp v22, v3 row_shr:1 row_mask:0xf bank_mask:0xf
	v_cndmask_b32_e64 v22, 0, v22, s[2:3]
	v_add_u32_e32 v3, v22, v3
	v_cmp_lt_u32_e64 s[2:3], 1, v19
	s_nop 0
	v_mov_b32_dpp v22, v3 row_shr:2 row_mask:0xf bank_mask:0xf
	v_cndmask_b32_e64 v22, 0, v22, s[2:3]
	v_add_u32_e32 v3, v3, v22
	v_cmp_lt_u32_e64 s[2:3], 3, v19
	s_nop 0
	;; [unrolled: 5-line block ×4, first 2 shown]
	v_mov_b32_dpp v19, v3 row_bcast:15 row_mask:0xf bank_mask:0xf
	v_and_b32_e32 v19, v24, v19
	v_add_u32_e32 v3, v3, v19
	s_nop 1
	v_mov_b32_dpp v19, v3 row_bcast:31 row_mask:0xf bank_mask:0xf
	v_cndmask_b32_e64 v19, 0, v19, s[2:3]
	v_add_u32_e32 v3, v3, v19
	s_and_saveexec_b64 s[2:3], vcc
	s_cbranch_execz .LBB32_23
; %bb.22:
	ds_write_b32 v20, v3
.LBB32_23:
	s_or_b64 exec, exec, s[2:3]
	v_cmp_gt_u32_e32 vcc, 8, v4
	v_add_u32_e32 v23, v16, v23
	s_waitcnt lgkmcnt(0)
	s_barrier
	s_and_saveexec_b64 s[2:3], vcc
	s_cbranch_execz .LBB32_25
; %bb.24:
	ds_read_b32 v19, v23
	v_and_b32_e32 v22, 7, v5
	v_cmp_ne_u32_e32 vcc, 0, v22
	s_waitcnt lgkmcnt(0)
	v_mov_b32_dpp v24, v19 row_shr:1 row_mask:0xf bank_mask:0xf
	v_cndmask_b32_e32 v24, 0, v24, vcc
	v_add_u32_e32 v19, v24, v19
	v_cmp_lt_u32_e32 vcc, 1, v22
	s_nop 0
	v_mov_b32_dpp v24, v19 row_shr:2 row_mask:0xf bank_mask:0xf
	v_cndmask_b32_e32 v24, 0, v24, vcc
	v_add_u32_e32 v19, v19, v24
	v_cmp_lt_u32_e32 vcc, 3, v22
	s_nop 0
	v_mov_b32_dpp v24, v19 row_shr:4 row_mask:0xf bank_mask:0xf
	v_cndmask_b32_e32 v22, 0, v24, vcc
	v_add_u32_e32 v19, v19, v22
	ds_write_b32 v23, v19
.LBB32_25:
	s_or_b64 exec, exec, s[2:3]
	v_cmp_lt_u32_e32 vcc, 63, v4
	v_mov_b32_e32 v19, 0
	s_waitcnt lgkmcnt(0)
	s_barrier
	s_and_saveexec_b64 s[2:3], vcc
	s_cbranch_execz .LBB32_27
; %bb.26:
	v_add_u32_e32 v19, -4, v20
	ds_read_b32 v19, v19
.LBB32_27:
	s_or_b64 exec, exec, s[2:3]
	v_cmp_lt_i32_e32 vcc, v17, v18
	v_cndmask_b32_e32 v17, v17, v5, vcc
	v_lshlrev_b32_e32 v17, 2, v17
	s_waitcnt lgkmcnt(0)
	v_add_u32_e32 v3, v19, v3
	ds_bpermute_b32 v3, v17, v3
	v_cmp_eq_u32_e32 vcc, 0, v5
	v_cndmask_b32_e64 v6, v7, v6, s[0:1]
	v_cndmask_b32_e64 v7, v9, v8, s[0:1]
	s_waitcnt lgkmcnt(0)
	v_cndmask_b32_e32 v3, v3, v19, vcc
	v_cmp_ne_u32_e32 vcc, 0, v4
	v_cndmask_b32_e32 v18, 0, v3, vcc
	v_add_u32_e32 v19, v18, v0
	v_add_u32_e32 v0, v19, v1
	;; [unrolled: 1-line block ×3, first 2 shown]
	ds_write2_b64 v16, v[18:19], v[0:1] offset0:4 offset1:5
	s_waitcnt lgkmcnt(0)
	s_barrier
	ds_read_b32 v0, v15 offset:32
	ds_read_b32 v1, v11 offset:32
	s_waitcnt lgkmcnt(0)
	s_barrier
	v_add3_u32 v0, v21, v14, v0
	v_add_u32_e32 v2, v1, v12
	ds_write_b8 v2, v10
	ds_write_b8 v0, v13
	s_waitcnt lgkmcnt(0)
	s_barrier
	ds_read_u8 v3, v4 offset:512
	ds_read_u8 v5, v4
	v_lshlrev_b32_e32 v2, 2, v2
	v_lshlrev_b32_e32 v0, 2, v0
	v_add_u32_e32 v1, 0x200, v4
	s_waitcnt lgkmcnt(1)
	v_lshlrev_b16_e32 v3, 8, v3
	s_waitcnt lgkmcnt(0)
	v_or_b32_e32 v3, v5, v3
	v_and_b32_e32 v3, 0xffff, v3
	s_barrier
	ds_write_b32 v2, v7
	ds_write_b32 v0, v6
	s_waitcnt lgkmcnt(0)
	s_barrier
.LBB32_28:
	ds_read_b32 v0, v23
	v_lshlrev_b32_e32 v1, 2, v1
	ds_read_b32 v1, v1
	v_lshrrev_b16_e32 v2, 8, v3
	global_store_byte v4, v2, s[36:37] offset:512
	v_lshlrev_b32_e32 v2, 2, v4
	global_store_byte v4, v3, s[36:37]
	s_waitcnt lgkmcnt(1)
	global_store_dword v2, v0, s[38:39]
	s_waitcnt lgkmcnt(0)
	global_store_dword v2, v1, s[38:39] offset:2048
	s_endpgm
	.section	.rodata,"a",@progbits
	.p2align	6, 0x0
	.amdhsa_kernel _Z21sort_key_value_kernelILj512ELj2ELb1ELb0EhiEvPT3_PT4_jj
		.amdhsa_group_segment_fixed_size 8224
		.amdhsa_private_segment_fixed_size 0
		.amdhsa_kernarg_size 280
		.amdhsa_user_sgpr_count 6
		.amdhsa_user_sgpr_private_segment_buffer 1
		.amdhsa_user_sgpr_dispatch_ptr 0
		.amdhsa_user_sgpr_queue_ptr 0
		.amdhsa_user_sgpr_kernarg_segment_ptr 1
		.amdhsa_user_sgpr_dispatch_id 0
		.amdhsa_user_sgpr_flat_scratch_init 0
		.amdhsa_user_sgpr_kernarg_preload_length 0
		.amdhsa_user_sgpr_kernarg_preload_offset 0
		.amdhsa_user_sgpr_private_segment_size 0
		.amdhsa_uses_dynamic_stack 0
		.amdhsa_system_sgpr_private_segment_wavefront_offset 0
		.amdhsa_system_sgpr_workgroup_id_x 1
		.amdhsa_system_sgpr_workgroup_id_y 0
		.amdhsa_system_sgpr_workgroup_id_z 0
		.amdhsa_system_sgpr_workgroup_info 0
		.amdhsa_system_vgpr_workitem_id 2
		.amdhsa_next_free_vgpr 42
		.amdhsa_next_free_sgpr 46
		.amdhsa_accum_offset 44
		.amdhsa_reserve_vcc 1
		.amdhsa_reserve_flat_scratch 0
		.amdhsa_float_round_mode_32 0
		.amdhsa_float_round_mode_16_64 0
		.amdhsa_float_denorm_mode_32 3
		.amdhsa_float_denorm_mode_16_64 3
		.amdhsa_dx10_clamp 1
		.amdhsa_ieee_mode 1
		.amdhsa_fp16_overflow 0
		.amdhsa_tg_split 0
		.amdhsa_exception_fp_ieee_invalid_op 0
		.amdhsa_exception_fp_denorm_src 0
		.amdhsa_exception_fp_ieee_div_zero 0
		.amdhsa_exception_fp_ieee_overflow 0
		.amdhsa_exception_fp_ieee_underflow 0
		.amdhsa_exception_fp_ieee_inexact 0
		.amdhsa_exception_int_div_zero 0
	.end_amdhsa_kernel
	.section	.text._Z21sort_key_value_kernelILj512ELj2ELb1ELb0EhiEvPT3_PT4_jj,"axG",@progbits,_Z21sort_key_value_kernelILj512ELj2ELb1ELb0EhiEvPT3_PT4_jj,comdat
.Lfunc_end32:
	.size	_Z21sort_key_value_kernelILj512ELj2ELb1ELb0EhiEvPT3_PT4_jj, .Lfunc_end32-_Z21sort_key_value_kernelILj512ELj2ELb1ELb0EhiEvPT3_PT4_jj
                                        ; -- End function
	.section	.AMDGPU.csdata,"",@progbits
; Kernel info:
; codeLenInByte = 3812
; NumSgprs: 50
; NumVgprs: 42
; NumAgprs: 0
; TotalNumVgprs: 42
; ScratchSize: 0
; MemoryBound: 0
; FloatMode: 240
; IeeeMode: 1
; LDSByteSize: 8224 bytes/workgroup (compile time only)
; SGPRBlocks: 6
; VGPRBlocks: 5
; NumSGPRsForWavesPerEU: 50
; NumVGPRsForWavesPerEU: 42
; AccumOffset: 44
; Occupancy: 8
; WaveLimiterHint : 1
; COMPUTE_PGM_RSRC2:SCRATCH_EN: 0
; COMPUTE_PGM_RSRC2:USER_SGPR: 6
; COMPUTE_PGM_RSRC2:TRAP_HANDLER: 0
; COMPUTE_PGM_RSRC2:TGID_X_EN: 1
; COMPUTE_PGM_RSRC2:TGID_Y_EN: 0
; COMPUTE_PGM_RSRC2:TGID_Z_EN: 0
; COMPUTE_PGM_RSRC2:TIDIG_COMP_CNT: 2
; COMPUTE_PGM_RSRC3_GFX90A:ACCUM_OFFSET: 10
; COMPUTE_PGM_RSRC3_GFX90A:TG_SPLIT: 0
	.section	.text._Z21sort_key_value_kernelILj162ELj2ELb1ELb1EjsEvPT3_PT4_jj,"axG",@progbits,_Z21sort_key_value_kernelILj162ELj2ELb1ELb1EjsEvPT3_PT4_jj,comdat
	.protected	_Z21sort_key_value_kernelILj162ELj2ELb1ELb1EjsEvPT3_PT4_jj ; -- Begin function _Z21sort_key_value_kernelILj162ELj2ELb1ELb1EjsEvPT3_PT4_jj
	.globl	_Z21sort_key_value_kernelILj162ELj2ELb1ELb1EjsEvPT3_PT4_jj
	.p2align	8
	.type	_Z21sort_key_value_kernelILj162ELj2ELb1ELb1EjsEvPT3_PT4_jj,@function
_Z21sort_key_value_kernelILj162ELj2ELb1ELb1EjsEvPT3_PT4_jj: ; @_Z21sort_key_value_kernelILj162ELj2ELb1ELb1EjsEvPT3_PT4_jj
; %bb.0:
	s_load_dwordx4 s[0:3], s[4:5], 0x0
	s_load_dwordx2 s[30:31], s[4:5], 0x10
	s_mul_i32 s4, s6, 0x144
	s_mov_b32 s5, 0
	s_lshl_b64 s[6:7], s[4:5], 2
	s_waitcnt lgkmcnt(0)
	s_add_u32 s26, s0, s6
	s_addc_u32 s27, s1, s7
	s_lshl_b64 s[0:1], s[4:5], 1
	v_lshlrev_b32_e32 v1, 3, v0
	s_add_u32 s28, s2, s0
	global_load_dwordx2 v[2:3], v1, s[26:27]
	s_addc_u32 s29, s3, s1
	v_lshlrev_b32_e32 v11, 2, v0
	global_load_dword v21, v11, s[28:29]
	v_mbcnt_lo_u32_b32 v1, -1, 0
	v_mbcnt_hi_u32_b32 v1, -1, v1
	s_cmp_eq_u32 s30, 0
	v_and_b32_e32 v4, 0xc0, v0
	v_add_u32_e32 v9, -1, v1
	v_and_b32_e32 v10, 64, v1
	s_cselect_b64 s[24:25], -1, 0
	s_cmp_eq_u32 s31, 32
	s_movk_i32 s8, 0xffe4
	s_mov_b32 s9, 0x1948b10
	v_lshlrev_b32_e32 v16, 5, v0
	v_lshrrev_b32_e32 v5, 4, v0
	v_sub_u32_e32 v6, 0x46d, v0
	v_min_u32_e32 v4, 0x62, v4
	v_cmp_lt_i32_e32 vcc, v9, v10
	s_cselect_b64 s[34:35], -1, 0
	v_and_b32_e32 v7, 15, v1
	v_and_b32_e32 v8, 16, v1
	v_cmp_lt_u32_e64 s[4:5], 31, v1
	v_cmp_eq_u32_e64 s[6:7], 0, v1
	v_and_b32_e32 v17, 12, v5
	v_mad_i32_i24 v18, v0, s8, v16
	v_and_b32_e32 v5, 3, v1
	v_mul_hi_u32 v6, v6, s9
	v_add_u32_e32 v4, 63, v4
	v_cndmask_b32_e32 v1, v9, v1, vcc
	s_and_b64 s[24:25], s[24:25], s[34:35]
	v_cmp_gt_u32_e64 s[0:1], 3, v0
	v_cmp_lt_u32_e64 s[2:3], 63, v0
	v_sub_u32_e32 v22, 0, v11
	v_cmp_eq_u32_e64 s[8:9], 0, v7
	v_cmp_lt_u32_e64 s[10:11], 1, v7
	v_cmp_lt_u32_e64 s[12:13], 3, v7
	;; [unrolled: 1-line block ×3, first 2 shown]
	v_cmp_eq_u32_e64 s[16:17], 0, v8
	v_cmp_eq_u32_e64 s[18:19], 0, v5
	v_cmp_lt_u32_e64 s[20:21], 1, v5
	v_add_u32_e32 v19, v18, v11
	v_add_u32_e32 v23, 3, v6
	v_add_u32_e32 v10, 1, v6
	v_cmp_eq_u32_e64 s[22:23], v4, v0
	v_lshlrev_b32_e32 v20, 2, v1
	s_and_b64 vcc, exec, s[24:25]
	s_waitcnt vmcnt(1)
	v_not_b32_e32 v13, v3
	v_not_b32_e32 v12, v2
	s_cbranch_vccnz .LBB33_18
; %bb.1:
	v_and_b32_e32 v25, 30, v23
	v_mov_b32_e32 v1, v10
	v_mov_b32_e32 v26, 0
	s_waitcnt vmcnt(0)
	v_mov_b32_e32 v8, v21
	v_pk_mov_b32 v[2:3], v[12:13], v[12:13] op_sel:[0,1]
	s_branch .LBB33_3
.LBB33_2:                               ;   in Loop: Header=BB33_3 Depth=1
	v_lshlrev_b32_e32 v8, 1, v5
	v_sub_u32_e32 v8, v7, v8
	s_barrier
	ds_write_b32 v7, v14
	ds_write_b32 v6, v15
	s_waitcnt lgkmcnt(0)
	s_barrier
	ds_read_b64 v[2:3], v19
	s_waitcnt lgkmcnt(0)
	s_barrier
	ds_write_b16 v8, v24
	v_lshlrev_b32_e32 v8, 1, v4
	v_sub_u32_e32 v8, v6, v8
	ds_write_b16_d16_hi v8, v24
	v_add_u32_e32 v8, v19, v22
	s_waitcnt lgkmcnt(0)
	s_barrier
	ds_read_b32 v8, v8
	s_waitcnt lgkmcnt(0)
	s_barrier
	s_cbranch_execz .LBB33_17
.LBB33_3:                               ; =>This Loop Header: Depth=1
                                        ;     Child Loop BB33_5 Depth 2
	v_pk_mov_b32 v[14:15], v[2:3], v[2:3] op_sel:[0,1]
	v_mov_b32_e32 v24, v8
	s_mov_b64 s[34:35], 0
	v_mov_b32_e32 v2, v18
	s_mov_b32 s33, 0
	s_branch .LBB33_5
.LBB33_4:                               ;   in Loop: Header=BB33_5 Depth=2
	s_or_b64 exec, exec, s[24:25]
	s_add_i32 s33, s33, 2
	v_cmp_eq_u32_e32 vcc, s33, v25
	s_or_b64 s[34:35], vcc, s[34:35]
	v_add_u32_e32 v2, 0x510, v2
	s_andn2_b64 exec, exec, s[34:35]
	s_cbranch_execz .LBB33_9
.LBB33_5:                               ;   Parent Loop BB33_3 Depth=1
                                        ; =>  This Inner Loop Header: Depth=2
	s_or_b32 s24, s33, 1
	v_cmp_le_u32_e32 vcc, s24, v1
	v_cmp_le_u32_e64 s[24:25], s33, v10
	s_and_saveexec_b64 s[36:37], s[24:25]
	s_cbranch_execz .LBB33_7
; %bb.6:                                ;   in Loop: Header=BB33_5 Depth=2
	ds_write_b32 v2, v26
.LBB33_7:                               ;   in Loop: Header=BB33_5 Depth=2
	s_or_b64 exec, exec, s[36:37]
	s_and_saveexec_b64 s[24:25], vcc
	s_cbranch_execz .LBB33_4
; %bb.8:                                ;   in Loop: Header=BB33_5 Depth=2
	ds_write_b32 v2, v26 offset:648
	s_branch .LBB33_4
.LBB33_9:                               ;   in Loop: Header=BB33_3 Depth=1
	s_or_b64 exec, exec, s[34:35]
	s_sub_i32 s24, s31, s30
	s_min_u32 s24, s24, 4
	s_lshl_b32 s24, -1, s24
	s_not_b32 s24, s24
	v_lshrrev_b32_e32 v2, s30, v14
	v_and_b32_e32 v2, s24, v2
	v_and_b32_e32 v3, 7, v2
	v_mul_u32_u24_e32 v3, 0xa2, v3
	v_lshrrev_b32_e32 v2, 3, v2
	v_add_lshl_u32 v3, v3, v0, 1
	v_add_lshl_u32 v28, v3, v2, 1
	ds_read_u16 v27, v28
	v_lshrrev_b32_e32 v2, s30, v15
	v_and_b32_e32 v2, s24, v2
	s_waitcnt lgkmcnt(0)
	v_add_u16_e32 v3, 1, v27
	ds_write_b16 v28, v3
	v_and_b32_e32 v3, 7, v2
	v_mul_u32_u24_e32 v3, 0xa2, v3
	v_lshrrev_b32_e32 v2, 3, v2
	v_add_lshl_u32 v3, v3, v0, 1
	v_add_lshl_u32 v30, v3, v2, 1
	ds_read_u16 v29, v30
	s_waitcnt lgkmcnt(0)
	v_add_u16_e32 v2, 1, v29
	ds_write_b16 v30, v2
	s_waitcnt lgkmcnt(0)
	s_barrier
	ds_read2_b64 v[6:9], v16 offset1:1
	ds_read2_b64 v[2:5], v16 offset0:2 offset1:3
	s_waitcnt lgkmcnt(1)
	v_add_u32_e32 v31, v7, v6
	v_add3_u32 v31, v31, v8, v9
	s_waitcnt lgkmcnt(0)
	v_add3_u32 v31, v31, v2, v3
	v_add3_u32 v5, v31, v4, v5
	s_nop 1
	v_mov_b32_dpp v31, v5 row_shr:1 row_mask:0xf bank_mask:0xf
	v_cndmask_b32_e64 v31, v31, 0, s[8:9]
	v_add_u32_e32 v5, v31, v5
	s_nop 1
	v_mov_b32_dpp v31, v5 row_shr:2 row_mask:0xf bank_mask:0xf
	v_cndmask_b32_e64 v31, 0, v31, s[10:11]
	v_add_u32_e32 v5, v5, v31
	;; [unrolled: 4-line block ×4, first 2 shown]
	s_nop 1
	v_mov_b32_dpp v31, v5 row_bcast:15 row_mask:0xf bank_mask:0xf
	v_cndmask_b32_e64 v31, v31, 0, s[16:17]
	v_add_u32_e32 v5, v5, v31
	s_nop 1
	v_mov_b32_dpp v31, v5 row_bcast:31 row_mask:0xf bank_mask:0xf
	v_cndmask_b32_e64 v31, 0, v31, s[4:5]
	v_add_u32_e32 v5, v5, v31
	s_and_saveexec_b64 s[24:25], s[22:23]
	s_cbranch_execz .LBB33_11
; %bb.10:                               ;   in Loop: Header=BB33_3 Depth=1
	ds_write_b32 v17, v5 offset:5184
.LBB33_11:                              ;   in Loop: Header=BB33_3 Depth=1
	s_or_b64 exec, exec, s[24:25]
	s_waitcnt lgkmcnt(0)
	s_barrier
	s_and_saveexec_b64 s[24:25], s[0:1]
	s_cbranch_execz .LBB33_13
; %bb.12:                               ;   in Loop: Header=BB33_3 Depth=1
	ds_read_b32 v31, v18 offset:5184
	s_waitcnt lgkmcnt(0)
	s_nop 0
	v_mov_b32_dpp v32, v31 row_shr:1 row_mask:0xf bank_mask:0xf
	v_cndmask_b32_e64 v32, v32, 0, s[18:19]
	v_add_u32_e32 v31, v32, v31
	s_nop 1
	v_mov_b32_dpp v32, v31 row_shr:2 row_mask:0xf bank_mask:0xf
	v_cndmask_b32_e64 v32, 0, v32, s[20:21]
	v_add_u32_e32 v31, v31, v32
	ds_write_b32 v18, v31 offset:5184
.LBB33_13:                              ;   in Loop: Header=BB33_3 Depth=1
	s_or_b64 exec, exec, s[24:25]
	v_mov_b32_e32 v31, 0
	s_waitcnt lgkmcnt(0)
	s_barrier
	s_and_saveexec_b64 s[24:25], s[2:3]
	s_cbranch_execz .LBB33_15
; %bb.14:                               ;   in Loop: Header=BB33_3 Depth=1
	ds_read_b32 v31, v17 offset:5180
.LBB33_15:                              ;   in Loop: Header=BB33_3 Depth=1
	s_or_b64 exec, exec, s[24:25]
	s_waitcnt lgkmcnt(0)
	v_add_u32_e32 v5, v31, v5
	ds_bpermute_b32 v5, v20, v5
	ds_read_b32 v32, v26 offset:5192
	s_add_i32 s30, s30, 4
	s_cmp_ge_u32 s30, s31
	s_waitcnt lgkmcnt(1)
	v_cndmask_b32_e64 v5, v5, v31, s[6:7]
	s_waitcnt lgkmcnt(0)
	v_lshl_add_u32 v32, v32, 16, v5
	v_add_u32_e32 v33, v32, v6
	v_add_u32_e32 v6, v33, v7
	;; [unrolled: 1-line block ×7, first 2 shown]
	ds_write2_b64 v16, v[32:33], v[6:7] offset1:1
	ds_write2_b64 v16, v[8:9], v[2:3] offset0:2 offset1:3
	s_waitcnt lgkmcnt(0)
	s_barrier
	ds_read_u16 v2, v28
	ds_read_u16 v3, v30
	s_waitcnt lgkmcnt(0)
	v_add_u32_sdwa v5, v2, v27 dst_sel:DWORD dst_unused:UNUSED_PAD src0_sel:DWORD src1_sel:WORD_0
	v_add_u32_sdwa v4, v3, v29 dst_sel:DWORD dst_unused:UNUSED_PAD src0_sel:DWORD src1_sel:WORD_0
	v_lshlrev_b32_e32 v7, 2, v5
	v_lshlrev_b32_e32 v6, 2, v4
	s_cbranch_scc0 .LBB33_2
; %bb.16:
                                        ; implicit-def: $vgpr2_vgpr3
                                        ; implicit-def: $vgpr8
.LBB33_17:
	s_barrier
	ds_write_b32 v7, v14
	ds_write_b32 v6, v15
	s_waitcnt lgkmcnt(0)
	s_barrier
	ds_read2_b32 v[2:3], v11 offset1:162
	v_lshlrev_b32_e32 v5, 1, v5
	v_lshlrev_b32_e32 v4, 1, v4
	v_sub_u32_e32 v5, v7, v5
	v_sub_u32_e32 v4, v6, v4
	v_add_u32_e32 v1, 0xa2, v0
	s_waitcnt lgkmcnt(0)
	s_barrier
	ds_write_b16 v5, v24
	ds_write_b16_d16_hi v4, v24
	s_waitcnt lgkmcnt(0)
	s_barrier
	s_branch .LBB33_36
.LBB33_18:
                                        ; implicit-def: $vgpr3
                                        ; implicit-def: $vgpr1
	s_cbranch_execz .LBB33_36
; %bb.19:
	v_and_b32_e32 v23, 30, v23
	v_mov_b32_e32 v1, v10
	s_mov_b32 s36, 0
	v_mov_b32_e32 v24, 0
	s_movk_i32 s33, 0xa2
	v_add_u32_e32 v25, v19, v22
	s_branch .LBB33_21
.LBB33_20:                              ;   in Loop: Header=BB33_21 Depth=1
	v_lshlrev_b32_e32 v2, 2, v5
	v_lshlrev_b32_e32 v6, 1, v5
	s_barrier
	ds_write_b32 v2, v14
	v_lshlrev_b32_e32 v3, 2, v4
	v_sub_u32_e32 v2, v2, v6
	ds_write_b32 v3, v15
	s_waitcnt lgkmcnt(0)
	s_barrier
	ds_read_b64 v[12:13], v19
	s_waitcnt lgkmcnt(0)
	s_barrier
	ds_write_b16 v2, v22
	v_lshlrev_b32_e32 v2, 1, v4
	v_sub_u32_e32 v2, v3, v2
	ds_write_b16_d16_hi v2, v22
	s_waitcnt lgkmcnt(0)
	s_barrier
	ds_read_b32 v21, v25
	s_add_i32 s36, s36, 4
	s_waitcnt lgkmcnt(0)
	s_barrier
	s_cbranch_execz .LBB33_35
.LBB33_21:                              ; =>This Loop Header: Depth=1
                                        ;     Child Loop BB33_23 Depth 2
	v_pk_mov_b32 v[14:15], v[12:13], v[12:13] op_sel:[0,1]
	s_waitcnt vmcnt(0)
	v_mov_b32_e32 v22, v21
	s_mov_b64 s[30:31], 0
	v_mov_b32_e32 v2, v18
	s_mov_b32 s37, 0
	s_branch .LBB33_23
.LBB33_22:                              ;   in Loop: Header=BB33_23 Depth=2
	s_or_b64 exec, exec, s[24:25]
	s_add_i32 s37, s37, 2
	v_cmp_eq_u32_e32 vcc, s37, v23
	s_or_b64 s[30:31], vcc, s[30:31]
	v_add_u32_e32 v2, 0x510, v2
	s_andn2_b64 exec, exec, s[30:31]
	s_cbranch_execz .LBB33_27
.LBB33_23:                              ;   Parent Loop BB33_21 Depth=1
                                        ; =>  This Inner Loop Header: Depth=2
	s_or_b32 s24, s37, 1
	v_cmp_le_u32_e32 vcc, s24, v1
	v_cmp_le_u32_e64 s[24:25], s37, v10
	s_and_saveexec_b64 s[34:35], s[24:25]
	s_cbranch_execz .LBB33_25
; %bb.24:                               ;   in Loop: Header=BB33_23 Depth=2
	ds_write_b32 v2, v24
.LBB33_25:                              ;   in Loop: Header=BB33_23 Depth=2
	s_or_b64 exec, exec, s[34:35]
	s_and_saveexec_b64 s[24:25], vcc
	s_cbranch_execz .LBB33_22
; %bb.26:                               ;   in Loop: Header=BB33_23 Depth=2
	ds_write_b32 v2, v24 offset:648
	s_branch .LBB33_22
.LBB33_27:                              ;   in Loop: Header=BB33_21 Depth=1
	s_or_b64 exec, exec, s[30:31]
	v_lshrrev_b32_e32 v2, s36, v14
	v_bfe_u32 v3, v14, s36, 3
	v_lshrrev_b32_e32 v2, 2, v2
	v_mad_u32_u24 v3, v3, s33, v0
	v_and_b32_e32 v2, 2, v2
	v_lshl_or_b32 v13, v3, 2, v2
	ds_read_u16 v12, v13
	v_lshrrev_b32_e32 v2, s36, v15
	v_bfe_u32 v3, v15, s36, 3
	v_lshrrev_b32_e32 v2, 2, v2
	v_mad_u32_u24 v3, v3, s33, v0
	s_waitcnt lgkmcnt(0)
	v_add_u16_e32 v4, 1, v12
	v_and_b32_e32 v2, 2, v2
	ds_write_b16 v13, v4
	v_lshl_or_b32 v26, v3, 2, v2
	ds_read_u16 v21, v26
	s_waitcnt lgkmcnt(0)
	v_add_u16_e32 v2, 1, v21
	ds_write_b16 v26, v2
	s_waitcnt lgkmcnt(0)
	s_barrier
	ds_read2_b64 v[6:9], v16 offset1:1
	ds_read2_b64 v[2:5], v16 offset0:2 offset1:3
	s_waitcnt lgkmcnt(1)
	v_add_u32_e32 v27, v7, v6
	v_add3_u32 v27, v27, v8, v9
	s_waitcnt lgkmcnt(0)
	v_add3_u32 v27, v27, v2, v3
	v_add3_u32 v5, v27, v4, v5
	s_nop 1
	v_mov_b32_dpp v27, v5 row_shr:1 row_mask:0xf bank_mask:0xf
	v_cndmask_b32_e64 v27, v27, 0, s[8:9]
	v_add_u32_e32 v5, v27, v5
	s_nop 1
	v_mov_b32_dpp v27, v5 row_shr:2 row_mask:0xf bank_mask:0xf
	v_cndmask_b32_e64 v27, 0, v27, s[10:11]
	v_add_u32_e32 v5, v5, v27
	;; [unrolled: 4-line block ×4, first 2 shown]
	s_nop 1
	v_mov_b32_dpp v27, v5 row_bcast:15 row_mask:0xf bank_mask:0xf
	v_cndmask_b32_e64 v27, v27, 0, s[16:17]
	v_add_u32_e32 v5, v5, v27
	s_nop 1
	v_mov_b32_dpp v27, v5 row_bcast:31 row_mask:0xf bank_mask:0xf
	v_cndmask_b32_e64 v27, 0, v27, s[4:5]
	v_add_u32_e32 v5, v5, v27
	s_and_saveexec_b64 s[24:25], s[22:23]
	s_cbranch_execz .LBB33_29
; %bb.28:                               ;   in Loop: Header=BB33_21 Depth=1
	ds_write_b32 v17, v5 offset:5184
.LBB33_29:                              ;   in Loop: Header=BB33_21 Depth=1
	s_or_b64 exec, exec, s[24:25]
	s_waitcnt lgkmcnt(0)
	s_barrier
	s_and_saveexec_b64 s[24:25], s[0:1]
	s_cbranch_execz .LBB33_31
; %bb.30:                               ;   in Loop: Header=BB33_21 Depth=1
	ds_read_b32 v27, v18 offset:5184
	s_waitcnt lgkmcnt(0)
	s_nop 0
	v_mov_b32_dpp v28, v27 row_shr:1 row_mask:0xf bank_mask:0xf
	v_cndmask_b32_e64 v28, v28, 0, s[18:19]
	v_add_u32_e32 v27, v28, v27
	s_nop 1
	v_mov_b32_dpp v28, v27 row_shr:2 row_mask:0xf bank_mask:0xf
	v_cndmask_b32_e64 v28, 0, v28, s[20:21]
	v_add_u32_e32 v27, v27, v28
	ds_write_b32 v18, v27 offset:5184
.LBB33_31:                              ;   in Loop: Header=BB33_21 Depth=1
	s_or_b64 exec, exec, s[24:25]
	v_mov_b32_e32 v27, 0
	s_waitcnt lgkmcnt(0)
	s_barrier
	s_and_saveexec_b64 s[24:25], s[2:3]
	s_cbranch_execz .LBB33_33
; %bb.32:                               ;   in Loop: Header=BB33_21 Depth=1
	ds_read_b32 v27, v17 offset:5180
.LBB33_33:                              ;   in Loop: Header=BB33_21 Depth=1
	s_or_b64 exec, exec, s[24:25]
	s_waitcnt lgkmcnt(0)
	v_add_u32_e32 v5, v27, v5
	ds_bpermute_b32 v5, v20, v5
	ds_read_b32 v28, v24 offset:5192
	s_cmp_gt_u32 s36, 27
	s_waitcnt lgkmcnt(1)
	v_cndmask_b32_e64 v5, v5, v27, s[6:7]
	s_waitcnt lgkmcnt(0)
	v_lshl_add_u32 v28, v28, 16, v5
	v_add_u32_e32 v29, v28, v6
	v_add_u32_e32 v6, v29, v7
	v_add_u32_e32 v7, v6, v8
	v_add_u32_e32 v8, v7, v9
	v_add_u32_e32 v9, v8, v2
	v_add_u32_e32 v2, v9, v3
	v_add_u32_e32 v3, v2, v4
	ds_write2_b64 v16, v[28:29], v[6:7] offset1:1
	ds_write2_b64 v16, v[8:9], v[2:3] offset0:2 offset1:3
	s_waitcnt lgkmcnt(0)
	s_barrier
	ds_read_u16 v2, v13
	ds_read_u16 v3, v26
	s_waitcnt lgkmcnt(1)
	v_add_u32_sdwa v5, v2, v12 dst_sel:DWORD dst_unused:UNUSED_PAD src0_sel:DWORD src1_sel:WORD_0
	s_waitcnt lgkmcnt(0)
	v_add_u32_sdwa v4, v3, v21 dst_sel:DWORD dst_unused:UNUSED_PAD src0_sel:DWORD src1_sel:WORD_0
	s_cbranch_scc0 .LBB33_20
; %bb.34:
                                        ; implicit-def: $sgpr36
                                        ; implicit-def: $vgpr12_vgpr13
                                        ; implicit-def: $vgpr21
.LBB33_35:
	v_lshlrev_b32_e32 v6, 2, v5
	v_lshlrev_b32_e32 v7, 2, v4
	s_barrier
	ds_write_b32 v6, v14
	ds_write_b32 v7, v15
	s_waitcnt lgkmcnt(0)
	s_barrier
	ds_read2_b32 v[2:3], v11 offset1:162
	v_lshlrev_b32_e32 v5, 1, v5
	v_lshlrev_b32_e32 v4, 1, v4
	v_sub_u32_e32 v5, v6, v5
	v_sub_u32_e32 v4, v7, v4
	v_add_u32_e32 v1, 0xa2, v0
	s_waitcnt lgkmcnt(0)
	s_barrier
	ds_write_b16 v5, v22
	ds_write_b16_d16_hi v4, v22
	s_waitcnt lgkmcnt(0)
	s_barrier
.LBB33_36:
	v_lshlrev_b32_e32 v0, 1, v0
	v_lshlrev_b32_e32 v1, 1, v1
	ds_read_u16 v4, v0
	ds_read_u16 v1, v1
	v_not_b32_e32 v2, v2
	v_not_b32_e32 v3, v3
	global_store_dword v11, v2, s[26:27]
	global_store_dword v11, v3, s[26:27] offset:648
	s_waitcnt lgkmcnt(1)
	global_store_short v0, v4, s[28:29]
	s_waitcnt lgkmcnt(0)
	global_store_short v0, v1, s[28:29] offset:324
	s_endpgm
	.section	.rodata,"a",@progbits
	.p2align	6, 0x0
	.amdhsa_kernel _Z21sort_key_value_kernelILj162ELj2ELb1ELb1EjsEvPT3_PT4_jj
		.amdhsa_group_segment_fixed_size 5200
		.amdhsa_private_segment_fixed_size 0
		.amdhsa_kernarg_size 24
		.amdhsa_user_sgpr_count 6
		.amdhsa_user_sgpr_private_segment_buffer 1
		.amdhsa_user_sgpr_dispatch_ptr 0
		.amdhsa_user_sgpr_queue_ptr 0
		.amdhsa_user_sgpr_kernarg_segment_ptr 1
		.amdhsa_user_sgpr_dispatch_id 0
		.amdhsa_user_sgpr_flat_scratch_init 0
		.amdhsa_user_sgpr_kernarg_preload_length 0
		.amdhsa_user_sgpr_kernarg_preload_offset 0
		.amdhsa_user_sgpr_private_segment_size 0
		.amdhsa_uses_dynamic_stack 0
		.amdhsa_system_sgpr_private_segment_wavefront_offset 0
		.amdhsa_system_sgpr_workgroup_id_x 1
		.amdhsa_system_sgpr_workgroup_id_y 0
		.amdhsa_system_sgpr_workgroup_id_z 0
		.amdhsa_system_sgpr_workgroup_info 0
		.amdhsa_system_vgpr_workitem_id 0
		.amdhsa_next_free_vgpr 34
		.amdhsa_next_free_sgpr 38
		.amdhsa_accum_offset 36
		.amdhsa_reserve_vcc 1
		.amdhsa_reserve_flat_scratch 0
		.amdhsa_float_round_mode_32 0
		.amdhsa_float_round_mode_16_64 0
		.amdhsa_float_denorm_mode_32 3
		.amdhsa_float_denorm_mode_16_64 3
		.amdhsa_dx10_clamp 1
		.amdhsa_ieee_mode 1
		.amdhsa_fp16_overflow 0
		.amdhsa_tg_split 0
		.amdhsa_exception_fp_ieee_invalid_op 0
		.amdhsa_exception_fp_denorm_src 0
		.amdhsa_exception_fp_ieee_div_zero 0
		.amdhsa_exception_fp_ieee_overflow 0
		.amdhsa_exception_fp_ieee_underflow 0
		.amdhsa_exception_fp_ieee_inexact 0
		.amdhsa_exception_int_div_zero 0
	.end_amdhsa_kernel
	.section	.text._Z21sort_key_value_kernelILj162ELj2ELb1ELb1EjsEvPT3_PT4_jj,"axG",@progbits,_Z21sort_key_value_kernelILj162ELj2ELb1ELb1EjsEvPT3_PT4_jj,comdat
.Lfunc_end33:
	.size	_Z21sort_key_value_kernelILj162ELj2ELb1ELb1EjsEvPT3_PT4_jj, .Lfunc_end33-_Z21sort_key_value_kernelILj162ELj2ELb1ELb1EjsEvPT3_PT4_jj
                                        ; -- End function
	.section	.AMDGPU.csdata,"",@progbits
; Kernel info:
; codeLenInByte = 2408
; NumSgprs: 42
; NumVgprs: 34
; NumAgprs: 0
; TotalNumVgprs: 34
; ScratchSize: 0
; MemoryBound: 0
; FloatMode: 240
; IeeeMode: 1
; LDSByteSize: 5200 bytes/workgroup (compile time only)
; SGPRBlocks: 5
; VGPRBlocks: 4
; NumSGPRsForWavesPerEU: 42
; NumVGPRsForWavesPerEU: 34
; AccumOffset: 36
; Occupancy: 8
; WaveLimiterHint : 1
; COMPUTE_PGM_RSRC2:SCRATCH_EN: 0
; COMPUTE_PGM_RSRC2:USER_SGPR: 6
; COMPUTE_PGM_RSRC2:TRAP_HANDLER: 0
; COMPUTE_PGM_RSRC2:TGID_X_EN: 1
; COMPUTE_PGM_RSRC2:TGID_Y_EN: 0
; COMPUTE_PGM_RSRC2:TGID_Z_EN: 0
; COMPUTE_PGM_RSRC2:TIDIG_COMP_CNT: 0
; COMPUTE_PGM_RSRC3_GFX90A:ACCUM_OFFSET: 8
; COMPUTE_PGM_RSRC3_GFX90A:TG_SPLIT: 0
	.section	.text._Z21sort_key_value_kernelILj102ELj3ELb0ELb1EtiEvPT3_PT4_jj,"axG",@progbits,_Z21sort_key_value_kernelILj102ELj3ELb0ELb1EtiEvPT3_PT4_jj,comdat
	.protected	_Z21sort_key_value_kernelILj102ELj3ELb0ELb1EtiEvPT3_PT4_jj ; -- Begin function _Z21sort_key_value_kernelILj102ELj3ELb0ELb1EtiEvPT3_PT4_jj
	.globl	_Z21sort_key_value_kernelILj102ELj3ELb0ELb1EtiEvPT3_PT4_jj
	.p2align	8
	.type	_Z21sort_key_value_kernelILj102ELj3ELb0ELb1EtiEvPT3_PT4_jj,@function
_Z21sort_key_value_kernelILj102ELj3ELb0ELb1EtiEvPT3_PT4_jj: ; @_Z21sort_key_value_kernelILj102ELj3ELb0ELb1EtiEvPT3_PT4_jj
; %bb.0:
	s_load_dwordx4 s[0:3], s[4:5], 0x0
	s_load_dwordx2 s[36:37], s[4:5], 0x10
	s_mul_i32 s4, s6, 0x132
	s_mov_b32 s5, 0
	s_lshl_b64 s[6:7], s[4:5], 1
	s_waitcnt lgkmcnt(0)
	s_add_u32 s30, s0, s6
	s_addc_u32 s31, s1, s7
	v_mul_u32_u24_e32 v1, 3, v0
	s_lshl_b64 s[0:1], s[4:5], 2
	v_lshlrev_b32_e32 v15, 1, v1
	s_add_u32 s34, s2, s0
	global_load_ushort v2, v15, s[30:31] offset:4
	global_load_dword v3, v15, s[30:31]
	s_addc_u32 s35, s3, s1
	v_lshlrev_b32_e32 v26, 2, v1
	global_load_dwordx3 v[10:12], v26, s[34:35]
	v_mbcnt_lo_u32_b32 v1, -1, 0
	v_mbcnt_hi_u32_b32 v1, -1, v1
	s_cmp_eq_u32 s36, 0
	v_and_b32_e32 v4, 64, v0
	v_add_u32_e32 v8, -1, v1
	v_and_b32_e32 v9, 64, v1
	s_cselect_b64 s[24:25], -1, 0
	s_cmp_eq_u32 s37, 16
	s_movk_i32 s0, 0x330
	s_movk_i32 s6, 0xffe4
	v_lshlrev_b32_e32 v19, 5, v0
	v_lshrrev_b32_e32 v5, 4, v0
	v_min_u32_e32 v4, 38, v4
	v_cmp_lt_i32_e32 vcc, v8, v9
	s_cselect_b64 s[26:27], -1, 0
	v_cmp_gt_u32_e64 s[22:23], s0, v0
	v_and_b32_e32 v6, 15, v1
	v_and_b32_e32 v7, 16, v1
	v_cmp_lt_u32_e64 s[8:9], 31, v1
	v_cmp_eq_u32_e64 s[0:1], 0, v1
	v_and_b32_e32 v20, 4, v5
	v_mad_i32_i24 v22, v0, s6, v19
	v_and_b32_e32 v5, 1, v1
	v_add_u32_e32 v4, 63, v4
	v_cndmask_b32_e32 v1, v8, v1, vcc
	s_and_b64 s[24:25], s[24:25], s[26:27]
	v_cmp_gt_u32_e64 s[4:5], 2, v0
	v_cmp_lt_u32_e64 s[2:3], 63, v0
	v_mul_i32_i24_e32 v23, 0xffffffe4, v0
	v_mul_u32_u24_e32 v13, 6, v0
	v_cmp_eq_u32_e64 s[20:21], 0, v6
	v_cmp_lt_u32_e64 s[18:19], 1, v6
	v_cmp_lt_u32_e64 s[16:17], 3, v6
	;; [unrolled: 1-line block ×3, first 2 shown]
	v_cmp_eq_u32_e64 s[10:11], 0, v7
	v_cmp_eq_u32_e64 s[6:7], 0, v5
	v_lshl_add_u32 v18, v0, 1, v22
	v_cmp_eq_u32_e64 s[12:13], v4, v0
	v_lshlrev_b32_e32 v21, 2, v1
	v_mov_b32_e32 v17, s31
	v_mov_b32_e32 v27, s35
	s_and_b64 vcc, exec, s[24:25]
	s_waitcnt vmcnt(2)
	v_xor_b32_e32 v24, -1, v2
	s_waitcnt vmcnt(1)
	v_xor_b32_e32 v25, -1, v3
	s_cbranch_vccnz .LBB34_40
; %bb.1:
	s_movk_i32 s24, 0x2ca
	v_mov_b32_e32 v1, 0x2ca
	v_cmp_gt_u32_e32 vcc, s24, v0
	v_subb_co_u32_e64 v1, s[24:25], v1, v0, vcc
	s_mov_b32 s24, 0x2828283
	v_mul_hi_u32 v1, v1, s24
	v_addc_co_u32_e32 v14, vcc, 0, v1, vcc
	v_lshrrev_b32_e32 v1, 1, v14
	v_add_u32_e32 v2, 1, v1
	v_and_b32_e32 v3, 3, v2
	v_and_b32_e32 v29, 12, v2
	v_mov_b32_e32 v2, 0x330
	v_mov_b32_e32 v1, v14
	v_cmp_lt_u32_e64 s[24:25], 5, v14
	v_cmp_ne_u32_e64 s[26:27], 0, v3
	v_lshl_add_u32 v31, v0, 2, v2
	v_lshl_add_u32 v16, v0, 5, v23
	s_movk_i32 s31, 0x198
	v_mul_u32_u24_e32 v33, 0x198, v3
	v_mov_b32_e32 v34, 0
	s_waitcnt vmcnt(0)
	v_mov_b32_e32 v2, v10
	v_mov_b32_e32 v3, v11
	;; [unrolled: 1-line block ×5, first 2 shown]
	s_branch .LBB34_3
.LBB34_2:                               ;   in Loop: Header=BB34_3 Depth=1
	v_add_u32_e32 v2, v7, v7
	s_barrier
	ds_write_b16 v7, v36
	ds_write_b16 v6, v37
	;; [unrolled: 1-line block ×3, first 2 shown]
	s_waitcnt lgkmcnt(0)
	s_barrier
	ds_read_b32 v36, v18
	ds_read_u16 v8, v18 offset:4
	s_waitcnt lgkmcnt(0)
	s_barrier
	ds_write_b32 v2, v32
	v_add_u32_e32 v2, v6, v6
	ds_write_b32 v2, v30
	v_add_u32_e32 v2, v4, v4
	v_add_u32_e32 v9, v18, v13
	ds_write_b32 v2, v28
	s_waitcnt lgkmcnt(0)
	s_barrier
	ds_read2_b32 v[2:3], v9 offset1:1
	ds_read_b32 v9, v9 offset:8
	s_waitcnt lgkmcnt(0)
	s_barrier
	s_cbranch_execz .LBB34_39
.LBB34_3:                               ; =>This Loop Header: Depth=1
                                        ;     Child Loop BB34_7 Depth 2
                                        ;     Child Loop BB34_27 Depth 2
	v_mov_b32_e32 v35, v8
	v_mov_b32_e32 v28, v9
	;; [unrolled: 1-line block ×4, first 2 shown]
	s_and_saveexec_b64 s[38:39], s[22:23]
	s_cbranch_execz .LBB34_31
; %bb.4:                                ;   in Loop: Header=BB34_3 Depth=1
	v_mov_b32_e32 v5, 0
	s_and_saveexec_b64 s[40:41], s[24:25]
	s_cbranch_execz .LBB34_24
; %bb.5:                                ;   in Loop: Header=BB34_3 Depth=1
	s_mov_b32 s33, 0
	s_mov_b64 s[42:43], 0
	v_mov_b32_e32 v2, v29
	v_mov_b32_e32 v3, v31
	;; [unrolled: 1-line block ×3, first 2 shown]
	s_branch .LBB34_7
.LBB34_6:                               ;   in Loop: Header=BB34_7 Depth=2
	s_or_b64 exec, exec, s[28:29]
	v_add_u32_e32 v2, -4, v2
	s_add_i32 s28, s33, 8
	v_cmp_eq_u32_e32 vcc, 0, v2
	s_add_i32 s33, s35, 2
	v_add_u32_e32 v4, 0xcc0, v4
	v_add_u32_e32 v3, 0xcc0, v3
	s_or_b64 s[42:43], vcc, s[42:43]
	v_mov_b32_e32 v5, s28
	s_andn2_b64 exec, exec, s[42:43]
	s_cbranch_execz .LBB34_23
.LBB34_7:                               ;   Parent Loop BB34_3 Depth=1
                                        ; =>  This Inner Loop Header: Depth=2
	s_or_b32 s28, s33, 1
	v_cmp_le_u32_e32 vcc, s28, v1
	v_cmp_le_u32_e64 s[28:29], s33, v14
	s_and_saveexec_b64 s[44:45], s[28:29]
	s_cbranch_execz .LBB34_9
; %bb.8:                                ;   in Loop: Header=BB34_7 Depth=2
	ds_write_b32 v4, v34
.LBB34_9:                               ;   in Loop: Header=BB34_7 Depth=2
	s_or_b64 exec, exec, s[44:45]
	s_and_saveexec_b64 s[28:29], vcc
	s_cbranch_execz .LBB34_11
; %bb.10:                               ;   in Loop: Header=BB34_7 Depth=2
	ds_write_b32 v4, v34 offset:408
.LBB34_11:                              ;   in Loop: Header=BB34_7 Depth=2
	s_or_b64 exec, exec, s[28:29]
	s_add_i32 s35, s33, 2
	s_add_i32 s28, s33, 3
	v_cmp_le_u32_e32 vcc, s28, v1
	v_cmp_le_u32_e64 s[28:29], s35, v14
	s_and_saveexec_b64 s[44:45], s[28:29]
	s_cbranch_execz .LBB34_13
; %bb.12:                               ;   in Loop: Header=BB34_7 Depth=2
	ds_write_b32 v3, v34
.LBB34_13:                              ;   in Loop: Header=BB34_7 Depth=2
	s_or_b64 exec, exec, s[44:45]
	s_and_saveexec_b64 s[28:29], vcc
	s_cbranch_execz .LBB34_15
; %bb.14:                               ;   in Loop: Header=BB34_7 Depth=2
	ds_write_b32 v3, v34 offset:408
.LBB34_15:                              ;   in Loop: Header=BB34_7 Depth=2
	s_or_b64 exec, exec, s[28:29]
	s_add_i32 s46, s35, 2
	s_add_i32 s35, s35, 3
	v_cmp_le_u32_e32 vcc, s35, v1
	v_cmp_le_u32_e64 s[28:29], s46, v14
	s_and_saveexec_b64 s[44:45], s[28:29]
	s_cbranch_execz .LBB34_17
; %bb.16:                               ;   in Loop: Header=BB34_7 Depth=2
	ds_write_b32 v3, v34 offset:816
.LBB34_17:                              ;   in Loop: Header=BB34_7 Depth=2
	s_or_b64 exec, exec, s[44:45]
	s_and_saveexec_b64 s[28:29], vcc
	s_cbranch_execz .LBB34_19
; %bb.18:                               ;   in Loop: Header=BB34_7 Depth=2
	ds_write_b32 v3, v34 offset:1224
.LBB34_19:                              ;   in Loop: Header=BB34_7 Depth=2
	s_or_b64 exec, exec, s[28:29]
	s_add_i32 s35, s46, 2
	s_add_i32 s46, s46, 3
	v_cmp_le_u32_e32 vcc, s46, v1
	v_cmp_le_u32_e64 s[28:29], s35, v14
	s_and_saveexec_b64 s[44:45], s[28:29]
	s_cbranch_execz .LBB34_21
; %bb.20:                               ;   in Loop: Header=BB34_7 Depth=2
	ds_write_b32 v3, v34 offset:1632
.LBB34_21:                              ;   in Loop: Header=BB34_7 Depth=2
	s_or_b64 exec, exec, s[44:45]
	s_and_saveexec_b64 s[28:29], vcc
	s_cbranch_execz .LBB34_6
; %bb.22:                               ;   in Loop: Header=BB34_7 Depth=2
	ds_write_b32 v3, v34 offset:2040
	s_branch .LBB34_6
.LBB34_23:                              ;   in Loop: Header=BB34_3 Depth=1
	s_or_b64 exec, exec, s[42:43]
.LBB34_24:                              ;   in Loop: Header=BB34_3 Depth=1
	s_or_b64 exec, exec, s[40:41]
	s_and_b64 exec, exec, s[26:27]
	s_cbranch_execz .LBB34_31
; %bb.25:                               ;   in Loop: Header=BB34_3 Depth=1
	v_mad_u64_u32 v[2:3], s[28:29], v5, s31, v[16:17]
	s_mov_b64 s[40:41], 0
	v_mov_b32_e32 v3, v33
	s_branch .LBB34_27
.LBB34_26:                              ;   in Loop: Header=BB34_27 Depth=2
	s_or_b64 exec, exec, s[28:29]
	v_add_u32_e32 v3, 0xfffffe68, v3
	v_cmp_eq_u32_e32 vcc, 0, v3
	v_add_u32_e32 v5, 2, v5
	s_or_b64 s[40:41], vcc, s[40:41]
	v_add_u32_e32 v2, 0x330, v2
	s_andn2_b64 exec, exec, s[40:41]
	s_cbranch_execz .LBB34_31
.LBB34_27:                              ;   Parent Loop BB34_3 Depth=1
                                        ; =>  This Inner Loop Header: Depth=2
	v_or_b32_e32 v4, 1, v5
	v_cmp_le_u32_e32 vcc, v4, v1
	v_cmp_le_u32_e64 s[28:29], v5, v14
	s_and_saveexec_b64 s[42:43], s[28:29]
	s_cbranch_execz .LBB34_29
; %bb.28:                               ;   in Loop: Header=BB34_27 Depth=2
	ds_write_b32 v2, v34
.LBB34_29:                              ;   in Loop: Header=BB34_27 Depth=2
	s_or_b64 exec, exec, s[42:43]
	s_and_saveexec_b64 s[28:29], vcc
	s_cbranch_execz .LBB34_26
; %bb.30:                               ;   in Loop: Header=BB34_27 Depth=2
	ds_write_b32 v2, v34 offset:408
	s_branch .LBB34_26
.LBB34_31:                              ;   in Loop: Header=BB34_3 Depth=1
	s_or_b64 exec, exec, s[38:39]
	s_sub_i32 s28, s37, s36
	s_min_u32 s28, s28, 4
	s_lshl_b32 s28, -1, s28
	s_not_b32 s28, s28
	v_lshrrev_b32_sdwa v2, s36, v36 dst_sel:DWORD dst_unused:UNUSED_PAD src0_sel:DWORD src1_sel:WORD_0
	v_and_b32_e32 v2, s28, v2
	v_and_b32_e32 v3, 7, v2
	v_mul_u32_u24_e32 v3, 0x66, v3
	v_lshrrev_b32_e32 v2, 3, v2
	v_add_lshl_u32 v3, v3, v0, 1
	v_add_lshl_u32 v38, v3, v2, 1
	ds_read_u16 v41, v38
	v_lshrrev_b32_e32 v37, 16, v36
	v_lshrrev_b32_e32 v2, s36, v37
	v_and_b32_e32 v2, s28, v2
	s_waitcnt lgkmcnt(0)
	v_add_u16_e32 v3, 1, v41
	ds_write_b16 v38, v3
	v_and_b32_e32 v3, 7, v2
	v_mul_u32_u24_e32 v3, 0x66, v3
	v_lshrrev_b32_e32 v2, 3, v2
	v_add_lshl_u32 v3, v3, v0, 1
	v_add_lshl_u32 v39, v3, v2, 1
	ds_read_u16 v42, v39
	s_waitcnt lgkmcnt(0)
	v_add_u16_e32 v2, 1, v42
	ds_write_b16 v39, v2
	v_lshrrev_b32_sdwa v2, s36, v35 dst_sel:DWORD dst_unused:UNUSED_PAD src0_sel:DWORD src1_sel:WORD_0
	v_and_b32_e32 v2, s28, v2
	v_and_b32_e32 v3, 7, v2
	v_mul_u32_u24_e32 v3, 0x66, v3
	v_lshrrev_b32_e32 v2, 3, v2
	v_add_lshl_u32 v3, v3, v0, 1
	v_add_lshl_u32 v40, v3, v2, 1
	ds_read_u16 v43, v40
	s_waitcnt lgkmcnt(0)
	v_add_u16_e32 v2, 1, v43
	ds_write_b16 v40, v2
	s_waitcnt lgkmcnt(0)
	s_barrier
	ds_read2_b64 v[6:9], v19 offset1:1
	ds_read2_b64 v[2:5], v19 offset0:2 offset1:3
	s_waitcnt lgkmcnt(1)
	v_add_u32_e32 v44, v7, v6
	v_add3_u32 v44, v44, v8, v9
	s_waitcnt lgkmcnt(0)
	v_add3_u32 v44, v44, v2, v3
	v_add3_u32 v5, v44, v4, v5
	s_nop 1
	v_mov_b32_dpp v44, v5 row_shr:1 row_mask:0xf bank_mask:0xf
	v_cndmask_b32_e64 v44, v44, 0, s[20:21]
	v_add_u32_e32 v5, v44, v5
	s_nop 1
	v_mov_b32_dpp v44, v5 row_shr:2 row_mask:0xf bank_mask:0xf
	v_cndmask_b32_e64 v44, 0, v44, s[18:19]
	v_add_u32_e32 v5, v5, v44
	;; [unrolled: 4-line block ×4, first 2 shown]
	s_nop 1
	v_mov_b32_dpp v44, v5 row_bcast:15 row_mask:0xf bank_mask:0xf
	v_cndmask_b32_e64 v44, v44, 0, s[10:11]
	v_add_u32_e32 v5, v5, v44
	s_nop 1
	v_mov_b32_dpp v44, v5 row_bcast:31 row_mask:0xf bank_mask:0xf
	v_cndmask_b32_e64 v44, 0, v44, s[8:9]
	v_add_u32_e32 v44, v5, v44
	s_and_saveexec_b64 s[28:29], s[12:13]
	s_cbranch_execz .LBB34_33
; %bb.32:                               ;   in Loop: Header=BB34_3 Depth=1
	ds_write_b32 v20, v44 offset:3264
.LBB34_33:                              ;   in Loop: Header=BB34_3 Depth=1
	s_or_b64 exec, exec, s[28:29]
	s_waitcnt lgkmcnt(0)
	s_barrier
	s_and_saveexec_b64 s[28:29], s[4:5]
	s_cbranch_execz .LBB34_35
; %bb.34:                               ;   in Loop: Header=BB34_3 Depth=1
	ds_read_b32 v5, v22 offset:3264
	s_waitcnt lgkmcnt(0)
	s_nop 0
	v_mov_b32_dpp v45, v5 row_shr:1 row_mask:0xf bank_mask:0xf
	v_cndmask_b32_e64 v45, v45, 0, s[6:7]
	v_add_u32_e32 v5, v45, v5
	ds_write_b32 v22, v5 offset:3264
.LBB34_35:                              ;   in Loop: Header=BB34_3 Depth=1
	s_or_b64 exec, exec, s[28:29]
	v_mov_b32_e32 v45, 0
	s_waitcnt lgkmcnt(0)
	s_barrier
	s_and_saveexec_b64 s[28:29], s[2:3]
	s_cbranch_execz .LBB34_37
; %bb.36:                               ;   in Loop: Header=BB34_3 Depth=1
	ds_read_b32 v45, v20 offset:3260
.LBB34_37:                              ;   in Loop: Header=BB34_3 Depth=1
	s_or_b64 exec, exec, s[28:29]
	s_waitcnt lgkmcnt(0)
	v_add_u32_e32 v44, v45, v44
	ds_bpermute_b32 v44, v21, v44
	ds_read_b32 v46, v34 offset:3268
	v_and_b32_e32 v47, 0xffff, v42
	v_and_b32_e32 v48, 0xffff, v43
	;; [unrolled: 1-line block ×3, first 2 shown]
	s_waitcnt lgkmcnt(1)
	v_cndmask_b32_e64 v42, v44, v45, s[0:1]
	s_waitcnt lgkmcnt(0)
	v_lshl_add_u32 v42, v46, 16, v42
	v_add_u32_e32 v43, v42, v6
	v_add_u32_e32 v6, v43, v7
	;; [unrolled: 1-line block ×7, first 2 shown]
	ds_write2_b64 v19, v[42:43], v[6:7] offset1:1
	ds_write2_b64 v19, v[8:9], v[2:3] offset0:2 offset1:3
	s_waitcnt lgkmcnt(0)
	s_barrier
	ds_read_u16 v2, v38
	ds_read_u16 v3, v39
	ds_read_u16 v4, v40
	s_add_i32 s36, s36, 4
	v_mov_b32_e32 v5, v36
	s_cmp_ge_u32 s36, s37
	s_waitcnt lgkmcnt(2)
	v_add_lshl_u32 v7, v2, v41, 1
	s_waitcnt lgkmcnt(1)
	v_add_lshl_u32 v6, v3, v47, 1
	;; [unrolled: 2-line block ×3, first 2 shown]
	s_cbranch_scc0 .LBB34_2
; %bb.38:
                                        ; implicit-def: $vgpr8
                                        ; implicit-def: $vgpr36
                                        ; implicit-def: $vgpr9
                                        ; implicit-def: $vgpr3
.LBB34_39:
	s_barrier
	ds_write_b16 v7, v5
	ds_write_b16 v6, v37
	;; [unrolled: 1-line block ×3, first 2 shown]
	s_waitcnt lgkmcnt(0)
	s_barrier
	ds_read_b32 v1, v18
	ds_read_u16 v2, v18 offset:4
	v_add_u32_e32 v3, v7, v7
	s_waitcnt lgkmcnt(0)
	s_barrier
	ds_write_b32 v3, v32
	v_add_u32_e32 v3, v6, v6
	ds_write_b32 v3, v30
	v_add_u32_e32 v3, v4, v4
	s_mov_b64 s[24:25], 0
	ds_write_b32 v3, v28
	s_waitcnt lgkmcnt(0)
	s_barrier
	s_branch .LBB34_41
.LBB34_40:
	s_mov_b64 s[24:25], -1
                                        ; implicit-def: $vgpr2
                                        ; implicit-def: $vgpr1
.LBB34_41:
	v_add_co_u32_e32 v16, vcc, s30, v15
	v_addc_co_u32_e32 v17, vcc, 0, v17, vcc
	v_add_co_u32_e32 v14, vcc, s34, v26
	v_addc_co_u32_e32 v15, vcc, 0, v27, vcc
	s_and_b64 vcc, exec, s[24:25]
	s_cbranch_vccz .LBB34_179
; %bb.42:
	s_and_saveexec_b64 s[26:27], s[22:23]
	s_cbranch_execz .LBB34_70
; %bb.43:
	s_movk_i32 s24, 0x2ca
	v_mov_b32_e32 v1, 0x2ca
	v_cmp_gt_u32_e32 vcc, s24, v0
	v_subb_co_u32_e64 v1, s[24:25], v1, v0, vcc
	s_mov_b32 s24, 0x2828283
	v_mul_hi_u32 v2, v1, s24
	v_cndmask_b32_e64 v3, 0, 1, vcc
	v_addc_co_u32_e64 v1, s[24:25], 0, v2, vcc
	v_add_u16_e32 v2, v2, v3
	v_lshrrev_b16_e32 v2, 1, v2
	s_mov_b32 s33, 0
	v_mov_b32_e32 v7, 0
	v_add_u32_e32 v2, 1, v2
	v_cmp_lt_u32_e32 vcc, 5, v1
	s_and_saveexec_b64 s[28:29], vcc
	s_cbranch_execz .LBB34_63
; %bb.44:
	v_mov_b32_e32 v4, 0x330
	v_and_b32_e32 v3, 0xfffc, v2
	v_lshl_add_u32 v4, v0, 2, v4
	s_mov_b64 s[30:31], 0
	v_mov_b32_e32 v5, 0
	v_mov_b32_e32 v6, v22
	s_branch .LBB34_46
.LBB34_45:                              ;   in Loop: Header=BB34_46 Depth=1
	s_or_b64 exec, exec, s[24:25]
	v_add_u32_e32 v3, -4, v3
	s_add_i32 s24, s33, 8
	v_cmp_eq_u32_e32 vcc, 0, v3
	s_add_i32 s33, s36, 2
	v_add_u32_e32 v6, 0xcc0, v6
	v_add_u32_e32 v4, 0xcc0, v4
	s_or_b64 s[30:31], vcc, s[30:31]
	v_mov_b32_e32 v7, s24
	s_andn2_b64 exec, exec, s[30:31]
	s_cbranch_execz .LBB34_62
.LBB34_46:                              ; =>This Inner Loop Header: Depth=1
	s_or_b32 s24, s33, 1
	v_cmp_le_u32_e32 vcc, s24, v1
	v_cmp_le_u32_e64 s[24:25], s33, v1
	s_and_saveexec_b64 s[34:35], s[24:25]
	s_cbranch_execz .LBB34_48
; %bb.47:                               ;   in Loop: Header=BB34_46 Depth=1
	ds_write_b32 v6, v5
.LBB34_48:                              ;   in Loop: Header=BB34_46 Depth=1
	s_or_b64 exec, exec, s[34:35]
	s_and_saveexec_b64 s[24:25], vcc
	s_cbranch_execz .LBB34_50
; %bb.49:                               ;   in Loop: Header=BB34_46 Depth=1
	ds_write_b32 v6, v5 offset:408
.LBB34_50:                              ;   in Loop: Header=BB34_46 Depth=1
	s_or_b64 exec, exec, s[24:25]
	s_add_i32 s36, s33, 2
	s_add_i32 s24, s33, 3
	v_cmp_le_u32_e32 vcc, s24, v1
	v_cmp_le_u32_e64 s[24:25], s36, v1
	s_and_saveexec_b64 s[34:35], s[24:25]
	s_cbranch_execz .LBB34_52
; %bb.51:                               ;   in Loop: Header=BB34_46 Depth=1
	ds_write_b32 v4, v5
.LBB34_52:                              ;   in Loop: Header=BB34_46 Depth=1
	s_or_b64 exec, exec, s[34:35]
	s_and_saveexec_b64 s[24:25], vcc
	s_cbranch_execz .LBB34_54
; %bb.53:                               ;   in Loop: Header=BB34_46 Depth=1
	ds_write_b32 v4, v5 offset:408
.LBB34_54:                              ;   in Loop: Header=BB34_46 Depth=1
	s_or_b64 exec, exec, s[24:25]
	s_add_i32 s37, s36, 2
	s_add_i32 s36, s36, 3
	v_cmp_le_u32_e32 vcc, s36, v1
	v_cmp_le_u32_e64 s[24:25], s37, v1
	s_and_saveexec_b64 s[34:35], s[24:25]
	s_cbranch_execz .LBB34_56
; %bb.55:                               ;   in Loop: Header=BB34_46 Depth=1
	ds_write_b32 v4, v5 offset:816
.LBB34_56:                              ;   in Loop: Header=BB34_46 Depth=1
	s_or_b64 exec, exec, s[34:35]
	s_and_saveexec_b64 s[24:25], vcc
	s_cbranch_execz .LBB34_58
; %bb.57:                               ;   in Loop: Header=BB34_46 Depth=1
	ds_write_b32 v4, v5 offset:1224
.LBB34_58:                              ;   in Loop: Header=BB34_46 Depth=1
	s_or_b64 exec, exec, s[24:25]
	s_add_i32 s36, s37, 2
	s_add_i32 s37, s37, 3
	v_cmp_le_u32_e32 vcc, s37, v1
	v_cmp_le_u32_e64 s[24:25], s36, v1
	s_and_saveexec_b64 s[34:35], s[24:25]
	s_cbranch_execz .LBB34_60
; %bb.59:                               ;   in Loop: Header=BB34_46 Depth=1
	ds_write_b32 v4, v5 offset:1632
.LBB34_60:                              ;   in Loop: Header=BB34_46 Depth=1
	s_or_b64 exec, exec, s[34:35]
	s_and_saveexec_b64 s[24:25], vcc
	s_cbranch_execz .LBB34_45
; %bb.61:                               ;   in Loop: Header=BB34_46 Depth=1
	ds_write_b32 v4, v5 offset:2040
	s_branch .LBB34_45
.LBB34_62:
	s_or_b64 exec, exec, s[30:31]
.LBB34_63:
	s_or_b64 exec, exec, s[28:29]
	v_and_b32_e32 v3, 3, v2
	v_cmp_ne_u32_e32 vcc, 0, v3
	s_and_b64 exec, exec, vcc
	s_cbranch_execz .LBB34_70
; %bb.64:
	s_movk_i32 s24, 0x198
	v_mul_lo_u32 v2, v7, s24
	v_add3_u32 v2, v23, v2, v19
	v_mul_u32_u24_e32 v3, 0x198, v3
	s_mov_b64 s[28:29], 0
	v_mov_b32_e32 v4, 0
	s_branch .LBB34_66
.LBB34_65:                              ;   in Loop: Header=BB34_66 Depth=1
	s_or_b64 exec, exec, s[24:25]
	v_add_u32_e32 v3, 0xfffffe68, v3
	v_cmp_eq_u32_e32 vcc, 0, v3
	v_add_u32_e32 v7, 2, v7
	s_or_b64 s[28:29], vcc, s[28:29]
	v_add_u32_e32 v2, 0x330, v2
	s_andn2_b64 exec, exec, s[28:29]
	s_cbranch_execz .LBB34_70
.LBB34_66:                              ; =>This Inner Loop Header: Depth=1
	v_or_b32_e32 v5, 1, v7
	v_cmp_le_u32_e32 vcc, v5, v1
	v_cmp_le_u32_e64 s[24:25], v7, v1
	s_and_saveexec_b64 s[30:31], s[24:25]
	s_cbranch_execz .LBB34_68
; %bb.67:                               ;   in Loop: Header=BB34_66 Depth=1
	ds_write_b32 v2, v4
.LBB34_68:                              ;   in Loop: Header=BB34_66 Depth=1
	s_or_b64 exec, exec, s[30:31]
	s_and_saveexec_b64 s[24:25], vcc
	s_cbranch_execz .LBB34_65
; %bb.69:                               ;   in Loop: Header=BB34_66 Depth=1
	ds_write_b32 v2, v4 offset:408
	s_branch .LBB34_65
.LBB34_70:
	s_or_b64 exec, exec, s[26:27]
	v_and_b32_e32 v1, 7, v25
	s_movk_i32 s24, 0x66
	v_lshrrev_b32_e32 v2, 2, v25
	v_mad_u32_u24 v1, v1, s24, v0
	v_and_b32_e32 v2, 2, v2
	v_lshl_or_b32 v1, v1, 2, v2
	ds_read_u16 v28, v1
	v_bfe_u32 v2, v25, 16, 3
	v_mad_u32_u24 v2, v2, s24, v0
	s_waitcnt lgkmcnt(0)
	v_add_u16_e32 v3, 1, v28
	ds_write_b16 v1, v3
	v_lshrrev_b32_e32 v3, 18, v25
	v_and_b32_e32 v3, 2, v3
	v_lshl_or_b32 v26, v2, 2, v3
	ds_read_u16 v29, v26
	v_mov_b32_e32 v3, 2
	v_lshrrev_b32_sdwa v3, v3, v24 dst_sel:DWORD dst_unused:UNUSED_PAD src0_sel:DWORD src1_sel:WORD_0
	v_and_b32_e32 v3, 2, v3
	s_waitcnt lgkmcnt(0)
	v_add_u16_e32 v2, 1, v29
	ds_write_b16 v26, v2
	v_mov_b32_e32 v2, 7
	v_and_b32_sdwa v2, v24, v2 dst_sel:DWORD dst_unused:UNUSED_PAD src0_sel:WORD_0 src1_sel:DWORD
	v_mad_u32_u24 v2, v2, s24, v0
	v_lshl_or_b32 v27, v2, 2, v3
	ds_read_u16 v30, v27
	s_waitcnt lgkmcnt(0)
	v_add_u16_e32 v2, 1, v30
	ds_write_b16 v27, v2
	s_waitcnt lgkmcnt(0)
	s_barrier
	ds_read2_b64 v[6:9], v19 offset1:1
	ds_read2_b64 v[2:5], v19 offset0:2 offset1:3
	s_waitcnt lgkmcnt(1)
	v_add_u32_e32 v31, v7, v6
	v_add3_u32 v31, v31, v8, v9
	s_waitcnt lgkmcnt(0)
	v_add3_u32 v31, v31, v2, v3
	v_add3_u32 v5, v31, v4, v5
	s_nop 1
	v_mov_b32_dpp v31, v5 row_shr:1 row_mask:0xf bank_mask:0xf
	v_cndmask_b32_e64 v31, v31, 0, s[20:21]
	v_add_u32_e32 v5, v31, v5
	s_nop 1
	v_mov_b32_dpp v31, v5 row_shr:2 row_mask:0xf bank_mask:0xf
	v_cndmask_b32_e64 v31, 0, v31, s[18:19]
	v_add_u32_e32 v5, v5, v31
	;; [unrolled: 4-line block ×4, first 2 shown]
	s_nop 1
	v_mov_b32_dpp v31, v5 row_bcast:15 row_mask:0xf bank_mask:0xf
	v_cndmask_b32_e64 v31, v31, 0, s[10:11]
	v_add_u32_e32 v5, v5, v31
	s_nop 1
	v_mov_b32_dpp v31, v5 row_bcast:31 row_mask:0xf bank_mask:0xf
	v_cndmask_b32_e64 v31, 0, v31, s[8:9]
	v_add_u32_e32 v31, v5, v31
	s_and_saveexec_b64 s[24:25], s[12:13]
	s_cbranch_execz .LBB34_72
; %bb.71:
	ds_write_b32 v20, v31 offset:3264
.LBB34_72:
	s_or_b64 exec, exec, s[24:25]
	s_waitcnt lgkmcnt(0)
	s_barrier
	s_and_saveexec_b64 s[24:25], s[4:5]
	s_cbranch_execz .LBB34_74
; %bb.73:
	ds_read_b32 v5, v22 offset:3264
	s_waitcnt lgkmcnt(0)
	s_nop 0
	v_mov_b32_dpp v32, v5 row_shr:1 row_mask:0xf bank_mask:0xf
	v_cndmask_b32_e64 v32, v32, 0, s[6:7]
	v_add_u32_e32 v5, v32, v5
	ds_write_b32 v22, v5 offset:3264
.LBB34_74:
	s_or_b64 exec, exec, s[24:25]
	v_lshrrev_b32_e32 v5, 16, v25
	v_mov_b32_e32 v33, 0
	v_mov_b32_e32 v32, 0
	s_waitcnt lgkmcnt(0)
	s_barrier
	s_and_saveexec_b64 s[24:25], s[2:3]
	s_cbranch_execz .LBB34_76
; %bb.75:
	ds_read_b32 v32, v20 offset:3260
.LBB34_76:
	s_or_b64 exec, exec, s[24:25]
	s_waitcnt lgkmcnt(0)
	v_add_u32_e32 v31, v32, v31
	ds_bpermute_b32 v31, v21, v31
	ds_read_b32 v33, v33 offset:3268
	v_and_b32_e32 v34, 0xffff, v28
	v_and_b32_e32 v35, 0xffff, v29
	v_and_b32_e32 v30, 0xffff, v30
	s_waitcnt lgkmcnt(1)
	v_cndmask_b32_e64 v28, v31, v32, s[0:1]
	s_waitcnt lgkmcnt(0)
	v_lshl_add_u32 v28, v33, 16, v28
	v_add_u32_e32 v29, v28, v6
	v_add_u32_e32 v6, v29, v7
	;; [unrolled: 1-line block ×7, first 2 shown]
	ds_write2_b64 v19, v[28:29], v[6:7] offset1:1
	ds_write2_b64 v19, v[8:9], v[2:3] offset0:2 offset1:3
	s_waitcnt lgkmcnt(0)
	s_barrier
	ds_read_u16 v1, v1
	ds_read_u16 v2, v26
	;; [unrolled: 1-line block ×3, first 2 shown]
	s_waitcnt lgkmcnt(0)
	s_barrier
	v_add_lshl_u32 v1, v1, v34, 1
	ds_write_b16 v1, v25
	v_add_lshl_u32 v2, v2, v35, 1
	v_add_lshl_u32 v3, v3, v30, 1
	v_add_u32_e32 v1, v1, v1
	ds_write_b16 v2, v5
	ds_write_b16 v3, v24
	s_waitcnt lgkmcnt(0)
	s_barrier
	ds_read_u16 v26, v18
	ds_read_u16 v25, v18 offset:2
	ds_read_u16 v24, v18 offset:4
	s_waitcnt lgkmcnt(0)
	s_barrier
	s_waitcnt vmcnt(0)
	ds_write_b32 v1, v10
	v_add_u32_e32 v1, v2, v2
	ds_write_b32 v1, v11
	v_add_u32_e32 v1, v3, v3
	;; [unrolled: 2-line block ×3, first 2 shown]
	s_waitcnt lgkmcnt(0)
	s_barrier
	ds_read2_b32 v[10:11], v1 offset1:1
	ds_read_b32 v12, v1 offset:8
	s_waitcnt lgkmcnt(0)
	s_barrier
	s_and_saveexec_b64 s[26:27], s[22:23]
	s_cbranch_execz .LBB34_104
; %bb.77:
	s_movk_i32 s24, 0x2ca
	v_mov_b32_e32 v2, 0x2ca
	v_cmp_gt_u32_e32 vcc, s24, v0
	v_subb_co_u32_e64 v2, s[24:25], v2, v0, vcc
	s_mov_b32 s24, 0x2828283
	v_mul_hi_u32 v3, v2, s24
	v_cndmask_b32_e64 v4, 0, 1, vcc
	v_addc_co_u32_e64 v2, s[24:25], 0, v3, vcc
	v_add_u16_e32 v3, v3, v4
	v_lshrrev_b16_e32 v3, 1, v3
	s_mov_b32 s33, 0
	v_mov_b32_e32 v8, 0
	v_add_u32_e32 v3, 1, v3
	v_cmp_lt_u32_e32 vcc, 5, v2
	s_and_saveexec_b64 s[28:29], vcc
	s_cbranch_execz .LBB34_97
; %bb.78:
	v_mov_b32_e32 v5, 0x330
	v_and_b32_e32 v4, 0xfffc, v3
	v_lshl_add_u32 v5, v0, 2, v5
	s_mov_b64 s[30:31], 0
	v_mov_b32_e32 v6, 0
	v_mov_b32_e32 v7, v22
	s_branch .LBB34_80
.LBB34_79:                              ;   in Loop: Header=BB34_80 Depth=1
	s_or_b64 exec, exec, s[24:25]
	v_add_u32_e32 v4, -4, v4
	s_add_i32 s24, s33, 8
	v_cmp_eq_u32_e32 vcc, 0, v4
	s_add_i32 s33, s36, 2
	v_add_u32_e32 v7, 0xcc0, v7
	v_add_u32_e32 v5, 0xcc0, v5
	s_or_b64 s[30:31], vcc, s[30:31]
	v_mov_b32_e32 v8, s24
	s_andn2_b64 exec, exec, s[30:31]
	s_cbranch_execz .LBB34_96
.LBB34_80:                              ; =>This Inner Loop Header: Depth=1
	s_or_b32 s24, s33, 1
	v_cmp_le_u32_e32 vcc, s24, v2
	v_cmp_le_u32_e64 s[24:25], s33, v2
	s_and_saveexec_b64 s[34:35], s[24:25]
	s_cbranch_execz .LBB34_82
; %bb.81:                               ;   in Loop: Header=BB34_80 Depth=1
	ds_write_b32 v7, v6
.LBB34_82:                              ;   in Loop: Header=BB34_80 Depth=1
	s_or_b64 exec, exec, s[34:35]
	s_and_saveexec_b64 s[24:25], vcc
	s_cbranch_execz .LBB34_84
; %bb.83:                               ;   in Loop: Header=BB34_80 Depth=1
	ds_write_b32 v7, v6 offset:408
.LBB34_84:                              ;   in Loop: Header=BB34_80 Depth=1
	s_or_b64 exec, exec, s[24:25]
	s_add_i32 s36, s33, 2
	s_add_i32 s24, s33, 3
	v_cmp_le_u32_e32 vcc, s24, v2
	v_cmp_le_u32_e64 s[24:25], s36, v2
	s_and_saveexec_b64 s[34:35], s[24:25]
	s_cbranch_execz .LBB34_86
; %bb.85:                               ;   in Loop: Header=BB34_80 Depth=1
	ds_write_b32 v5, v6
.LBB34_86:                              ;   in Loop: Header=BB34_80 Depth=1
	s_or_b64 exec, exec, s[34:35]
	s_and_saveexec_b64 s[24:25], vcc
	s_cbranch_execz .LBB34_88
; %bb.87:                               ;   in Loop: Header=BB34_80 Depth=1
	ds_write_b32 v5, v6 offset:408
.LBB34_88:                              ;   in Loop: Header=BB34_80 Depth=1
	s_or_b64 exec, exec, s[24:25]
	s_add_i32 s37, s36, 2
	s_add_i32 s36, s36, 3
	v_cmp_le_u32_e32 vcc, s36, v2
	v_cmp_le_u32_e64 s[24:25], s37, v2
	s_and_saveexec_b64 s[34:35], s[24:25]
	s_cbranch_execz .LBB34_90
; %bb.89:                               ;   in Loop: Header=BB34_80 Depth=1
	ds_write_b32 v5, v6 offset:816
.LBB34_90:                              ;   in Loop: Header=BB34_80 Depth=1
	s_or_b64 exec, exec, s[34:35]
	s_and_saveexec_b64 s[24:25], vcc
	s_cbranch_execz .LBB34_92
; %bb.91:                               ;   in Loop: Header=BB34_80 Depth=1
	ds_write_b32 v5, v6 offset:1224
.LBB34_92:                              ;   in Loop: Header=BB34_80 Depth=1
	s_or_b64 exec, exec, s[24:25]
	s_add_i32 s36, s37, 2
	s_add_i32 s37, s37, 3
	v_cmp_le_u32_e32 vcc, s37, v2
	v_cmp_le_u32_e64 s[24:25], s36, v2
	s_and_saveexec_b64 s[34:35], s[24:25]
	s_cbranch_execz .LBB34_94
; %bb.93:                               ;   in Loop: Header=BB34_80 Depth=1
	ds_write_b32 v5, v6 offset:1632
.LBB34_94:                              ;   in Loop: Header=BB34_80 Depth=1
	s_or_b64 exec, exec, s[34:35]
	s_and_saveexec_b64 s[24:25], vcc
	s_cbranch_execz .LBB34_79
; %bb.95:                               ;   in Loop: Header=BB34_80 Depth=1
	ds_write_b32 v5, v6 offset:2040
	s_branch .LBB34_79
.LBB34_96:
	s_or_b64 exec, exec, s[30:31]
.LBB34_97:
	s_or_b64 exec, exec, s[28:29]
	v_and_b32_e32 v4, 3, v3
	v_cmp_ne_u32_e32 vcc, 0, v4
	s_and_b64 exec, exec, vcc
	s_cbranch_execz .LBB34_104
; %bb.98:
	s_movk_i32 s24, 0x198
	v_mul_lo_u32 v3, v8, s24
	v_add3_u32 v3, v23, v3, v19
	v_mul_u32_u24_e32 v4, 0x198, v4
	s_mov_b64 s[28:29], 0
	v_mov_b32_e32 v5, 0
	s_branch .LBB34_100
.LBB34_99:                              ;   in Loop: Header=BB34_100 Depth=1
	s_or_b64 exec, exec, s[24:25]
	v_add_u32_e32 v4, 0xfffffe68, v4
	v_cmp_eq_u32_e32 vcc, 0, v4
	v_add_u32_e32 v8, 2, v8
	s_or_b64 s[28:29], vcc, s[28:29]
	v_add_u32_e32 v3, 0x330, v3
	s_andn2_b64 exec, exec, s[28:29]
	s_cbranch_execz .LBB34_104
.LBB34_100:                             ; =>This Inner Loop Header: Depth=1
	v_or_b32_e32 v6, 1, v8
	v_cmp_le_u32_e32 vcc, v6, v2
	v_cmp_le_u32_e64 s[24:25], v8, v2
	s_and_saveexec_b64 s[30:31], s[24:25]
	s_cbranch_execz .LBB34_102
; %bb.101:                              ;   in Loop: Header=BB34_100 Depth=1
	ds_write_b32 v3, v5
.LBB34_102:                             ;   in Loop: Header=BB34_100 Depth=1
	s_or_b64 exec, exec, s[30:31]
	s_and_saveexec_b64 s[24:25], vcc
	s_cbranch_execz .LBB34_99
; %bb.103:                              ;   in Loop: Header=BB34_100 Depth=1
	ds_write_b32 v3, v5 offset:408
	s_branch .LBB34_99
.LBB34_104:
	s_or_b64 exec, exec, s[26:27]
	v_lshrrev_b16_e32 v2, 4, v26
	v_and_b32_e32 v3, 7, v2
	s_movk_i32 s24, 0x66
	v_lshrrev_b32_e32 v2, 2, v2
	v_mad_u32_u24 v3, v3, s24, v0
	v_and_b32_e32 v2, 2, v2
	v_lshl_or_b32 v27, v3, 2, v2
	ds_read_u16 v30, v27
	v_lshrrev_b16_e32 v2, 4, v25
	s_waitcnt lgkmcnt(0)
	v_add_u16_e32 v3, 1, v30
	ds_write_b16 v27, v3
	v_and_b32_e32 v3, 7, v2
	v_lshrrev_b32_e32 v2, 2, v2
	v_mad_u32_u24 v3, v3, s24, v0
	v_and_b32_e32 v2, 2, v2
	v_lshl_or_b32 v28, v3, 2, v2
	ds_read_u16 v31, v28
	s_waitcnt lgkmcnt(0)
	v_add_u16_e32 v2, 1, v31
	ds_write_b16 v28, v2
	v_lshrrev_b16_e32 v2, 4, v24
	v_and_b32_e32 v3, 7, v2
	v_lshrrev_b32_e32 v2, 2, v2
	v_mad_u32_u24 v3, v3, s24, v0
	v_and_b32_e32 v2, 2, v2
	v_lshl_or_b32 v29, v3, 2, v2
	ds_read_u16 v32, v29
	s_waitcnt lgkmcnt(0)
	v_add_u16_e32 v2, 1, v32
	ds_write_b16 v29, v2
	s_waitcnt lgkmcnt(0)
	s_barrier
	ds_read2_b64 v[6:9], v19 offset1:1
	ds_read2_b64 v[2:5], v19 offset0:2 offset1:3
	s_waitcnt lgkmcnt(1)
	v_add_u32_e32 v33, v7, v6
	v_add3_u32 v33, v33, v8, v9
	s_waitcnt lgkmcnt(0)
	v_add3_u32 v33, v33, v2, v3
	v_add3_u32 v5, v33, v4, v5
	s_nop 1
	v_mov_b32_dpp v33, v5 row_shr:1 row_mask:0xf bank_mask:0xf
	v_cndmask_b32_e64 v33, v33, 0, s[20:21]
	v_add_u32_e32 v5, v33, v5
	s_nop 1
	v_mov_b32_dpp v33, v5 row_shr:2 row_mask:0xf bank_mask:0xf
	v_cndmask_b32_e64 v33, 0, v33, s[18:19]
	v_add_u32_e32 v5, v5, v33
	;; [unrolled: 4-line block ×4, first 2 shown]
	s_nop 1
	v_mov_b32_dpp v33, v5 row_bcast:15 row_mask:0xf bank_mask:0xf
	v_cndmask_b32_e64 v33, v33, 0, s[10:11]
	v_add_u32_e32 v5, v5, v33
	s_nop 1
	v_mov_b32_dpp v33, v5 row_bcast:31 row_mask:0xf bank_mask:0xf
	v_cndmask_b32_e64 v33, 0, v33, s[8:9]
	v_add_u32_e32 v5, v5, v33
	s_and_saveexec_b64 s[24:25], s[12:13]
	s_cbranch_execz .LBB34_106
; %bb.105:
	ds_write_b32 v20, v5 offset:3264
.LBB34_106:
	s_or_b64 exec, exec, s[24:25]
	s_waitcnt lgkmcnt(0)
	s_barrier
	s_and_saveexec_b64 s[24:25], s[4:5]
	s_cbranch_execz .LBB34_108
; %bb.107:
	ds_read_b32 v33, v22 offset:3264
	s_waitcnt lgkmcnt(0)
	s_nop 0
	v_mov_b32_dpp v34, v33 row_shr:1 row_mask:0xf bank_mask:0xf
	v_cndmask_b32_e64 v34, v34, 0, s[6:7]
	v_add_u32_e32 v33, v34, v33
	ds_write_b32 v22, v33 offset:3264
.LBB34_108:
	s_or_b64 exec, exec, s[24:25]
	v_mov_b32_e32 v34, 0
	v_mov_b32_e32 v33, 0
	s_waitcnt lgkmcnt(0)
	s_barrier
	s_and_saveexec_b64 s[24:25], s[2:3]
	s_cbranch_execz .LBB34_110
; %bb.109:
	ds_read_b32 v33, v20 offset:3260
.LBB34_110:
	s_or_b64 exec, exec, s[24:25]
	s_waitcnt lgkmcnt(0)
	v_add_u32_e32 v5, v33, v5
	ds_bpermute_b32 v5, v21, v5
	ds_read_b32 v34, v34 offset:3268
	v_and_b32_e32 v35, 0xffff, v30
	v_and_b32_e32 v36, 0xffff, v31
	;; [unrolled: 1-line block ×3, first 2 shown]
	s_waitcnt lgkmcnt(1)
	v_cndmask_b32_e64 v5, v5, v33, s[0:1]
	s_waitcnt lgkmcnt(0)
	v_lshl_add_u32 v30, v34, 16, v5
	v_add_u32_e32 v31, v30, v6
	v_add_u32_e32 v6, v31, v7
	;; [unrolled: 1-line block ×7, first 2 shown]
	ds_write2_b64 v19, v[30:31], v[6:7] offset1:1
	ds_write2_b64 v19, v[8:9], v[2:3] offset0:2 offset1:3
	s_waitcnt lgkmcnt(0)
	s_barrier
	ds_read_u16 v2, v27
	ds_read_u16 v3, v28
	;; [unrolled: 1-line block ×3, first 2 shown]
	s_waitcnt lgkmcnt(0)
	s_barrier
	v_add_lshl_u32 v2, v2, v35, 1
	ds_write_b16 v2, v26
	v_add_lshl_u32 v3, v3, v36, 1
	v_add_lshl_u32 v4, v4, v32, 1
	v_add_u32_e32 v2, v2, v2
	ds_write_b16 v3, v25
	ds_write_b16 v4, v24
	s_waitcnt lgkmcnt(0)
	s_barrier
	ds_read_u16 v27, v18
	ds_read_u16 v25, v18 offset:2
	ds_read_u16 v24, v18 offset:4
	s_waitcnt lgkmcnt(0)
	s_barrier
	ds_write_b32 v2, v10
	v_add_u32_e32 v2, v3, v3
	ds_write_b32 v2, v11
	v_add_u32_e32 v2, v4, v4
	ds_write_b32 v2, v12
	s_waitcnt lgkmcnt(0)
	s_barrier
	ds_read2_b32 v[10:11], v1 offset1:1
	ds_read_b32 v26, v1 offset:8
	s_waitcnt lgkmcnt(0)
	s_barrier
	s_and_saveexec_b64 s[26:27], s[22:23]
	s_cbranch_execz .LBB34_138
; %bb.111:
	s_movk_i32 s24, 0x2ca
	v_mov_b32_e32 v2, 0x2ca
	v_cmp_gt_u32_e32 vcc, s24, v0
	v_subb_co_u32_e64 v2, s[24:25], v2, v0, vcc
	s_mov_b32 s24, 0x2828283
	v_mul_hi_u32 v3, v2, s24
	v_cndmask_b32_e64 v4, 0, 1, vcc
	v_addc_co_u32_e64 v2, s[24:25], 0, v3, vcc
	v_add_u16_e32 v3, v3, v4
	v_lshrrev_b16_e32 v3, 1, v3
	s_mov_b32 s33, 0
	v_mov_b32_e32 v8, 0
	v_add_u32_e32 v3, 1, v3
	v_cmp_lt_u32_e32 vcc, 5, v2
	s_and_saveexec_b64 s[28:29], vcc
	s_cbranch_execz .LBB34_131
; %bb.112:
	v_mov_b32_e32 v5, 0x330
	v_and_b32_e32 v4, 0xfffc, v3
	v_lshl_add_u32 v5, v0, 2, v5
	s_mov_b64 s[30:31], 0
	v_mov_b32_e32 v6, 0
	v_mov_b32_e32 v7, v22
	s_branch .LBB34_114
.LBB34_113:                             ;   in Loop: Header=BB34_114 Depth=1
	s_or_b64 exec, exec, s[24:25]
	v_add_u32_e32 v4, -4, v4
	s_add_i32 s24, s33, 8
	v_cmp_eq_u32_e32 vcc, 0, v4
	s_add_i32 s33, s36, 2
	v_add_u32_e32 v7, 0xcc0, v7
	v_add_u32_e32 v5, 0xcc0, v5
	s_or_b64 s[30:31], vcc, s[30:31]
	v_mov_b32_e32 v8, s24
	s_andn2_b64 exec, exec, s[30:31]
	s_cbranch_execz .LBB34_130
.LBB34_114:                             ; =>This Inner Loop Header: Depth=1
	s_or_b32 s24, s33, 1
	v_cmp_le_u32_e32 vcc, s24, v2
	v_cmp_le_u32_e64 s[24:25], s33, v2
	s_and_saveexec_b64 s[34:35], s[24:25]
	s_cbranch_execz .LBB34_116
; %bb.115:                              ;   in Loop: Header=BB34_114 Depth=1
	ds_write_b32 v7, v6
.LBB34_116:                             ;   in Loop: Header=BB34_114 Depth=1
	s_or_b64 exec, exec, s[34:35]
	s_and_saveexec_b64 s[24:25], vcc
	s_cbranch_execz .LBB34_118
; %bb.117:                              ;   in Loop: Header=BB34_114 Depth=1
	ds_write_b32 v7, v6 offset:408
.LBB34_118:                             ;   in Loop: Header=BB34_114 Depth=1
	s_or_b64 exec, exec, s[24:25]
	s_add_i32 s36, s33, 2
	s_add_i32 s24, s33, 3
	v_cmp_le_u32_e32 vcc, s24, v2
	v_cmp_le_u32_e64 s[24:25], s36, v2
	s_and_saveexec_b64 s[34:35], s[24:25]
	s_cbranch_execz .LBB34_120
; %bb.119:                              ;   in Loop: Header=BB34_114 Depth=1
	ds_write_b32 v5, v6
.LBB34_120:                             ;   in Loop: Header=BB34_114 Depth=1
	s_or_b64 exec, exec, s[34:35]
	s_and_saveexec_b64 s[24:25], vcc
	s_cbranch_execz .LBB34_122
; %bb.121:                              ;   in Loop: Header=BB34_114 Depth=1
	ds_write_b32 v5, v6 offset:408
.LBB34_122:                             ;   in Loop: Header=BB34_114 Depth=1
	s_or_b64 exec, exec, s[24:25]
	s_add_i32 s37, s36, 2
	s_add_i32 s36, s36, 3
	v_cmp_le_u32_e32 vcc, s36, v2
	v_cmp_le_u32_e64 s[24:25], s37, v2
	s_and_saveexec_b64 s[34:35], s[24:25]
	s_cbranch_execz .LBB34_124
; %bb.123:                              ;   in Loop: Header=BB34_114 Depth=1
	ds_write_b32 v5, v6 offset:816
.LBB34_124:                             ;   in Loop: Header=BB34_114 Depth=1
	s_or_b64 exec, exec, s[34:35]
	s_and_saveexec_b64 s[24:25], vcc
	s_cbranch_execz .LBB34_126
; %bb.125:                              ;   in Loop: Header=BB34_114 Depth=1
	ds_write_b32 v5, v6 offset:1224
.LBB34_126:                             ;   in Loop: Header=BB34_114 Depth=1
	s_or_b64 exec, exec, s[24:25]
	s_add_i32 s36, s37, 2
	s_add_i32 s37, s37, 3
	v_cmp_le_u32_e32 vcc, s37, v2
	v_cmp_le_u32_e64 s[24:25], s36, v2
	s_and_saveexec_b64 s[34:35], s[24:25]
	s_cbranch_execz .LBB34_128
; %bb.127:                              ;   in Loop: Header=BB34_114 Depth=1
	ds_write_b32 v5, v6 offset:1632
.LBB34_128:                             ;   in Loop: Header=BB34_114 Depth=1
	s_or_b64 exec, exec, s[34:35]
	s_and_saveexec_b64 s[24:25], vcc
	s_cbranch_execz .LBB34_113
; %bb.129:                              ;   in Loop: Header=BB34_114 Depth=1
	ds_write_b32 v5, v6 offset:2040
	s_branch .LBB34_113
.LBB34_130:
	s_or_b64 exec, exec, s[30:31]
.LBB34_131:
	s_or_b64 exec, exec, s[28:29]
	v_and_b32_e32 v4, 3, v3
	v_cmp_ne_u32_e32 vcc, 0, v4
	s_and_b64 exec, exec, vcc
	s_cbranch_execz .LBB34_138
; %bb.132:
	s_movk_i32 s24, 0x198
	v_mul_lo_u32 v3, v8, s24
	v_add3_u32 v3, v23, v3, v19
	v_mul_u32_u24_e32 v4, 0x198, v4
	s_mov_b64 s[28:29], 0
	v_mov_b32_e32 v5, 0
	s_branch .LBB34_134
.LBB34_133:                             ;   in Loop: Header=BB34_134 Depth=1
	s_or_b64 exec, exec, s[24:25]
	v_add_u32_e32 v4, 0xfffffe68, v4
	v_cmp_eq_u32_e32 vcc, 0, v4
	v_add_u32_e32 v8, 2, v8
	s_or_b64 s[28:29], vcc, s[28:29]
	v_add_u32_e32 v3, 0x330, v3
	s_andn2_b64 exec, exec, s[28:29]
	s_cbranch_execz .LBB34_138
.LBB34_134:                             ; =>This Inner Loop Header: Depth=1
	v_or_b32_e32 v6, 1, v8
	v_cmp_le_u32_e32 vcc, v6, v2
	v_cmp_le_u32_e64 s[24:25], v8, v2
	s_and_saveexec_b64 s[30:31], s[24:25]
	s_cbranch_execz .LBB34_136
; %bb.135:                              ;   in Loop: Header=BB34_134 Depth=1
	ds_write_b32 v3, v5
.LBB34_136:                             ;   in Loop: Header=BB34_134 Depth=1
	s_or_b64 exec, exec, s[30:31]
	s_and_saveexec_b64 s[24:25], vcc
	s_cbranch_execz .LBB34_133
; %bb.137:                              ;   in Loop: Header=BB34_134 Depth=1
	ds_write_b32 v3, v5 offset:408
	s_branch .LBB34_133
.LBB34_138:
	s_or_b64 exec, exec, s[26:27]
	v_mov_b32_e32 v2, 7
	v_mov_b32_e32 v4, 2
	v_and_b32_sdwa v3, v27, v2 dst_sel:DWORD dst_unused:UNUSED_PAD src0_sel:BYTE_1 src1_sel:DWORD
	s_movk_i32 s24, 0x66
	v_lshrrev_b32_sdwa v5, v4, v27 dst_sel:DWORD dst_unused:UNUSED_PAD src0_sel:DWORD src1_sel:BYTE_1
	v_mad_u32_u24 v3, v3, s24, v0
	v_and_b32_e32 v5, 2, v5
	v_lshl_or_b32 v12, v3, 2, v5
	ds_read_u16 v30, v12
	v_lshrrev_b32_sdwa v5, v4, v25 dst_sel:DWORD dst_unused:UNUSED_PAD src0_sel:DWORD src1_sel:BYTE_1
	v_and_b32_e32 v5, 2, v5
	s_waitcnt lgkmcnt(0)
	v_add_u16_e32 v3, 1, v30
	ds_write_b16 v12, v3
	v_and_b32_sdwa v3, v25, v2 dst_sel:DWORD dst_unused:UNUSED_PAD src0_sel:BYTE_1 src1_sel:DWORD
	v_mad_u32_u24 v3, v3, s24, v0
	v_lshl_or_b32 v28, v3, 2, v5
	ds_read_u16 v31, v28
	v_and_b32_sdwa v2, v24, v2 dst_sel:DWORD dst_unused:UNUSED_PAD src0_sel:BYTE_1 src1_sel:DWORD
	v_mad_u32_u24 v2, v2, s24, v0
	s_waitcnt lgkmcnt(0)
	v_add_u16_e32 v3, 1, v31
	ds_write_b16 v28, v3
	v_lshrrev_b32_sdwa v3, v4, v24 dst_sel:DWORD dst_unused:UNUSED_PAD src0_sel:DWORD src1_sel:BYTE_1
	v_and_b32_e32 v3, 2, v3
	v_lshl_or_b32 v29, v2, 2, v3
	ds_read_u16 v32, v29
	s_waitcnt lgkmcnt(0)
	v_add_u16_e32 v2, 1, v32
	ds_write_b16 v29, v2
	s_waitcnt lgkmcnt(0)
	s_barrier
	ds_read2_b64 v[6:9], v19 offset1:1
	ds_read2_b64 v[2:5], v19 offset0:2 offset1:3
	s_waitcnt lgkmcnt(1)
	v_add_u32_e32 v33, v7, v6
	v_add3_u32 v33, v33, v8, v9
	s_waitcnt lgkmcnt(0)
	v_add3_u32 v33, v33, v2, v3
	v_add3_u32 v5, v33, v4, v5
	s_nop 1
	v_mov_b32_dpp v33, v5 row_shr:1 row_mask:0xf bank_mask:0xf
	v_cndmask_b32_e64 v33, v33, 0, s[20:21]
	v_add_u32_e32 v5, v33, v5
	s_nop 1
	v_mov_b32_dpp v33, v5 row_shr:2 row_mask:0xf bank_mask:0xf
	v_cndmask_b32_e64 v33, 0, v33, s[18:19]
	v_add_u32_e32 v5, v5, v33
	;; [unrolled: 4-line block ×4, first 2 shown]
	s_nop 1
	v_mov_b32_dpp v33, v5 row_bcast:15 row_mask:0xf bank_mask:0xf
	v_cndmask_b32_e64 v33, v33, 0, s[10:11]
	v_add_u32_e32 v5, v5, v33
	s_nop 1
	v_mov_b32_dpp v33, v5 row_bcast:31 row_mask:0xf bank_mask:0xf
	v_cndmask_b32_e64 v33, 0, v33, s[8:9]
	v_add_u32_e32 v5, v5, v33
	s_and_saveexec_b64 s[24:25], s[12:13]
	s_cbranch_execz .LBB34_140
; %bb.139:
	ds_write_b32 v20, v5 offset:3264
.LBB34_140:
	s_or_b64 exec, exec, s[24:25]
	s_waitcnt lgkmcnt(0)
	s_barrier
	s_and_saveexec_b64 s[24:25], s[4:5]
	s_cbranch_execz .LBB34_142
; %bb.141:
	ds_read_b32 v33, v22 offset:3264
	s_waitcnt lgkmcnt(0)
	s_nop 0
	v_mov_b32_dpp v34, v33 row_shr:1 row_mask:0xf bank_mask:0xf
	v_cndmask_b32_e64 v34, v34, 0, s[6:7]
	v_add_u32_e32 v33, v34, v33
	ds_write_b32 v22, v33 offset:3264
.LBB34_142:
	s_or_b64 exec, exec, s[24:25]
	v_mov_b32_e32 v34, 0
	v_mov_b32_e32 v33, 0
	s_waitcnt lgkmcnt(0)
	s_barrier
	s_and_saveexec_b64 s[24:25], s[2:3]
	s_cbranch_execz .LBB34_144
; %bb.143:
	ds_read_b32 v33, v20 offset:3260
.LBB34_144:
	s_or_b64 exec, exec, s[24:25]
	s_waitcnt lgkmcnt(0)
	v_add_u32_e32 v5, v33, v5
	ds_bpermute_b32 v5, v21, v5
	ds_read_b32 v34, v34 offset:3268
	v_and_b32_e32 v35, 0xffff, v30
	v_and_b32_e32 v36, 0xffff, v31
	;; [unrolled: 1-line block ×3, first 2 shown]
	s_waitcnt lgkmcnt(1)
	v_cndmask_b32_e64 v5, v5, v33, s[0:1]
	s_waitcnt lgkmcnt(0)
	v_lshl_add_u32 v30, v34, 16, v5
	v_add_u32_e32 v31, v30, v6
	v_add_u32_e32 v6, v31, v7
	;; [unrolled: 1-line block ×7, first 2 shown]
	ds_write2_b64 v19, v[30:31], v[6:7] offset1:1
	ds_write2_b64 v19, v[8:9], v[2:3] offset0:2 offset1:3
	s_waitcnt lgkmcnt(0)
	s_barrier
	ds_read_u16 v2, v12
	ds_read_u16 v3, v28
	;; [unrolled: 1-line block ×3, first 2 shown]
	s_waitcnt lgkmcnt(0)
	s_barrier
	v_add_lshl_u32 v2, v2, v35, 1
	ds_write_b16 v2, v27
	v_add_lshl_u32 v3, v3, v36, 1
	v_add_lshl_u32 v4, v4, v32, 1
	v_add_u32_e32 v2, v2, v2
	ds_write_b16 v3, v25
	ds_write_b16 v4, v24
	s_waitcnt lgkmcnt(0)
	s_barrier
	ds_read_u16 v25, v18
	ds_read_u16 v24, v18 offset:2
	ds_read_u16 v12, v18 offset:4
	s_waitcnt lgkmcnt(0)
	s_barrier
	ds_write_b32 v2, v10
	v_add_u32_e32 v2, v3, v3
	ds_write_b32 v2, v11
	v_add_u32_e32 v2, v4, v4
	ds_write_b32 v2, v26
	s_waitcnt lgkmcnt(0)
	s_barrier
	ds_read2_b32 v[8:9], v1 offset1:1
	ds_read_b32 v10, v1 offset:8
	s_waitcnt lgkmcnt(0)
	s_barrier
	s_and_saveexec_b64 s[24:25], s[22:23]
	s_cbranch_execz .LBB34_172
; %bb.145:
	s_movk_i32 s22, 0x2ca
	v_mov_b32_e32 v1, 0x2ca
	v_cmp_gt_u32_e32 vcc, s22, v0
	v_subb_co_u32_e64 v1, s[22:23], v1, v0, vcc
	s_mov_b32 s22, 0x2828283
	v_mul_hi_u32 v2, v1, s22
	v_cndmask_b32_e64 v3, 0, 1, vcc
	v_addc_co_u32_e64 v1, s[22:23], 0, v2, vcc
	v_add_u16_e32 v2, v2, v3
	v_lshrrev_b16_e32 v2, 1, v2
	s_mov_b32 s33, 0
	v_mov_b32_e32 v7, 0
	v_add_u32_e32 v2, 1, v2
	v_cmp_lt_u32_e32 vcc, 5, v1
	s_and_saveexec_b64 s[26:27], vcc
	s_cbranch_execz .LBB34_165
; %bb.146:
	v_mov_b32_e32 v4, 0x330
	v_and_b32_e32 v3, 0xfffc, v2
	v_lshl_add_u32 v4, v0, 2, v4
	s_mov_b64 s[28:29], 0
	v_mov_b32_e32 v5, 0
	v_mov_b32_e32 v6, v22
	s_branch .LBB34_148
.LBB34_147:                             ;   in Loop: Header=BB34_148 Depth=1
	s_or_b64 exec, exec, s[22:23]
	v_add_u32_e32 v3, -4, v3
	s_add_i32 s22, s33, 8
	v_cmp_eq_u32_e32 vcc, 0, v3
	s_add_i32 s33, s34, 2
	v_add_u32_e32 v6, 0xcc0, v6
	v_add_u32_e32 v4, 0xcc0, v4
	s_or_b64 s[28:29], vcc, s[28:29]
	v_mov_b32_e32 v7, s22
	s_andn2_b64 exec, exec, s[28:29]
	s_cbranch_execz .LBB34_164
.LBB34_148:                             ; =>This Inner Loop Header: Depth=1
	s_or_b32 s22, s33, 1
	v_cmp_le_u32_e32 vcc, s22, v1
	v_cmp_le_u32_e64 s[22:23], s33, v1
	s_and_saveexec_b64 s[30:31], s[22:23]
	s_cbranch_execz .LBB34_150
; %bb.149:                              ;   in Loop: Header=BB34_148 Depth=1
	ds_write_b32 v6, v5
.LBB34_150:                             ;   in Loop: Header=BB34_148 Depth=1
	s_or_b64 exec, exec, s[30:31]
	s_and_saveexec_b64 s[22:23], vcc
	s_cbranch_execz .LBB34_152
; %bb.151:                              ;   in Loop: Header=BB34_148 Depth=1
	ds_write_b32 v6, v5 offset:408
.LBB34_152:                             ;   in Loop: Header=BB34_148 Depth=1
	s_or_b64 exec, exec, s[22:23]
	s_add_i32 s34, s33, 2
	s_add_i32 s22, s33, 3
	v_cmp_le_u32_e32 vcc, s22, v1
	v_cmp_le_u32_e64 s[22:23], s34, v1
	s_and_saveexec_b64 s[30:31], s[22:23]
	s_cbranch_execz .LBB34_154
; %bb.153:                              ;   in Loop: Header=BB34_148 Depth=1
	ds_write_b32 v4, v5
.LBB34_154:                             ;   in Loop: Header=BB34_148 Depth=1
	s_or_b64 exec, exec, s[30:31]
	s_and_saveexec_b64 s[22:23], vcc
	s_cbranch_execz .LBB34_156
; %bb.155:                              ;   in Loop: Header=BB34_148 Depth=1
	ds_write_b32 v4, v5 offset:408
.LBB34_156:                             ;   in Loop: Header=BB34_148 Depth=1
	s_or_b64 exec, exec, s[22:23]
	s_add_i32 s35, s34, 2
	s_add_i32 s34, s34, 3
	v_cmp_le_u32_e32 vcc, s34, v1
	v_cmp_le_u32_e64 s[22:23], s35, v1
	s_and_saveexec_b64 s[30:31], s[22:23]
	s_cbranch_execz .LBB34_158
; %bb.157:                              ;   in Loop: Header=BB34_148 Depth=1
	ds_write_b32 v4, v5 offset:816
.LBB34_158:                             ;   in Loop: Header=BB34_148 Depth=1
	s_or_b64 exec, exec, s[30:31]
	s_and_saveexec_b64 s[22:23], vcc
	s_cbranch_execz .LBB34_160
; %bb.159:                              ;   in Loop: Header=BB34_148 Depth=1
	ds_write_b32 v4, v5 offset:1224
.LBB34_160:                             ;   in Loop: Header=BB34_148 Depth=1
	s_or_b64 exec, exec, s[22:23]
	s_add_i32 s34, s35, 2
	s_add_i32 s35, s35, 3
	v_cmp_le_u32_e32 vcc, s35, v1
	v_cmp_le_u32_e64 s[22:23], s34, v1
	s_and_saveexec_b64 s[30:31], s[22:23]
	s_cbranch_execz .LBB34_162
; %bb.161:                              ;   in Loop: Header=BB34_148 Depth=1
	ds_write_b32 v4, v5 offset:1632
.LBB34_162:                             ;   in Loop: Header=BB34_148 Depth=1
	s_or_b64 exec, exec, s[30:31]
	s_and_saveexec_b64 s[22:23], vcc
	s_cbranch_execz .LBB34_147
; %bb.163:                              ;   in Loop: Header=BB34_148 Depth=1
	ds_write_b32 v4, v5 offset:2040
	s_branch .LBB34_147
.LBB34_164:
	s_or_b64 exec, exec, s[28:29]
.LBB34_165:
	s_or_b64 exec, exec, s[26:27]
	v_and_b32_e32 v3, 3, v2
	v_cmp_ne_u32_e32 vcc, 0, v3
	s_and_b64 exec, exec, vcc
	s_cbranch_execz .LBB34_172
; %bb.166:
	s_movk_i32 s22, 0x198
	v_mul_lo_u32 v2, v7, s22
	v_add3_u32 v2, v23, v2, v19
	v_mul_u32_u24_e32 v3, 0x198, v3
	s_mov_b64 s[26:27], 0
	v_mov_b32_e32 v4, 0
	s_branch .LBB34_168
.LBB34_167:                             ;   in Loop: Header=BB34_168 Depth=1
	s_or_b64 exec, exec, s[22:23]
	v_add_u32_e32 v3, 0xfffffe68, v3
	v_cmp_eq_u32_e32 vcc, 0, v3
	v_add_u32_e32 v7, 2, v7
	s_or_b64 s[26:27], vcc, s[26:27]
	v_add_u32_e32 v2, 0x330, v2
	s_andn2_b64 exec, exec, s[26:27]
	s_cbranch_execz .LBB34_172
.LBB34_168:                             ; =>This Inner Loop Header: Depth=1
	v_or_b32_e32 v5, 1, v7
	v_cmp_le_u32_e32 vcc, v5, v1
	v_cmp_le_u32_e64 s[22:23], v7, v1
	s_and_saveexec_b64 s[28:29], s[22:23]
	s_cbranch_execz .LBB34_170
; %bb.169:                              ;   in Loop: Header=BB34_168 Depth=1
	ds_write_b32 v2, v4
.LBB34_170:                             ;   in Loop: Header=BB34_168 Depth=1
	s_or_b64 exec, exec, s[28:29]
	s_and_saveexec_b64 s[22:23], vcc
	s_cbranch_execz .LBB34_167
; %bb.171:                              ;   in Loop: Header=BB34_168 Depth=1
	ds_write_b32 v2, v4 offset:408
	s_branch .LBB34_167
.LBB34_172:
	s_or_b64 exec, exec, s[24:25]
	v_lshrrev_b16_e32 v1, 12, v25
	v_and_b32_e32 v2, 7, v1
	s_movk_i32 s22, 0x66
	v_lshrrev_b32_e32 v1, 2, v1
	v_mad_u32_u24 v2, v2, s22, v0
	v_and_b32_e32 v1, 2, v1
	v_lshl_or_b32 v11, v2, 2, v1
	ds_read_u16 v28, v11
	v_lshrrev_b16_e32 v1, 12, v24
	s_waitcnt lgkmcnt(0)
	v_add_u16_e32 v2, 1, v28
	ds_write_b16 v11, v2
	v_and_b32_e32 v2, 7, v1
	v_lshrrev_b32_e32 v1, 2, v1
	v_mad_u32_u24 v2, v2, s22, v0
	v_and_b32_e32 v1, 2, v1
	v_lshl_or_b32 v23, v2, 2, v1
	ds_read_u16 v29, v23
	s_waitcnt lgkmcnt(0)
	v_add_u16_e32 v1, 1, v29
	ds_write_b16 v23, v1
	v_lshrrev_b16_e32 v1, 12, v12
	v_and_b32_e32 v2, 7, v1
	v_lshrrev_b32_e32 v1, 2, v1
	v_mad_u32_u24 v0, v2, s22, v0
	v_and_b32_e32 v1, 2, v1
	v_lshl_or_b32 v27, v0, 2, v1
	ds_read_u16 v26, v27
	s_waitcnt lgkmcnt(0)
	v_add_u16_e32 v0, 1, v26
	ds_write_b16 v27, v0
	s_waitcnt lgkmcnt(0)
	s_barrier
	ds_read2_b64 v[4:7], v19 offset1:1
	ds_read2_b64 v[0:3], v19 offset0:2 offset1:3
	s_waitcnt lgkmcnt(1)
	v_add_u32_e32 v30, v5, v4
	v_add3_u32 v30, v30, v6, v7
	s_waitcnt lgkmcnt(0)
	v_add3_u32 v30, v30, v0, v1
	v_add3_u32 v3, v30, v2, v3
	s_nop 1
	v_mov_b32_dpp v30, v3 row_shr:1 row_mask:0xf bank_mask:0xf
	v_cndmask_b32_e64 v30, v30, 0, s[20:21]
	v_add_u32_e32 v3, v30, v3
	s_nop 1
	v_mov_b32_dpp v30, v3 row_shr:2 row_mask:0xf bank_mask:0xf
	v_cndmask_b32_e64 v30, 0, v30, s[18:19]
	v_add_u32_e32 v3, v3, v30
	;; [unrolled: 4-line block ×4, first 2 shown]
	s_nop 1
	v_mov_b32_dpp v30, v3 row_bcast:15 row_mask:0xf bank_mask:0xf
	v_cndmask_b32_e64 v30, v30, 0, s[10:11]
	v_add_u32_e32 v3, v3, v30
	s_nop 1
	v_mov_b32_dpp v30, v3 row_bcast:31 row_mask:0xf bank_mask:0xf
	v_cndmask_b32_e64 v30, 0, v30, s[8:9]
	v_add_u32_e32 v3, v3, v30
	s_and_saveexec_b64 s[8:9], s[12:13]
	s_cbranch_execz .LBB34_174
; %bb.173:
	ds_write_b32 v20, v3 offset:3264
.LBB34_174:
	s_or_b64 exec, exec, s[8:9]
	s_waitcnt lgkmcnt(0)
	s_barrier
	s_and_saveexec_b64 s[8:9], s[4:5]
	s_cbranch_execz .LBB34_176
; %bb.175:
	ds_read_b32 v30, v22 offset:3264
	s_waitcnt lgkmcnt(0)
	s_nop 0
	v_mov_b32_dpp v31, v30 row_shr:1 row_mask:0xf bank_mask:0xf
	v_cndmask_b32_e64 v31, v31, 0, s[6:7]
	v_add_u32_e32 v30, v31, v30
	ds_write_b32 v22, v30 offset:3264
.LBB34_176:
	s_or_b64 exec, exec, s[8:9]
	v_mov_b32_e32 v30, 0
	v_mov_b32_e32 v22, 0
	s_waitcnt lgkmcnt(0)
	s_barrier
	s_and_saveexec_b64 s[4:5], s[2:3]
	s_cbranch_execz .LBB34_178
; %bb.177:
	ds_read_b32 v22, v20 offset:3260
.LBB34_178:
	s_or_b64 exec, exec, s[4:5]
	s_waitcnt lgkmcnt(0)
	v_add_u32_e32 v3, v22, v3
	ds_bpermute_b32 v3, v21, v3
	ds_read_b32 v20, v30 offset:3268
	v_and_b32_e32 v28, 0xffff, v28
	v_and_b32_e32 v29, 0xffff, v29
	s_waitcnt lgkmcnt(1)
	v_cndmask_b32_e64 v3, v3, v22, s[0:1]
	s_waitcnt lgkmcnt(0)
	v_lshl_add_u32 v20, v20, 16, v3
	v_add_u32_e32 v21, v20, v4
	v_add_u32_e32 v4, v21, v5
	;; [unrolled: 1-line block ×7, first 2 shown]
	ds_write2_b64 v19, v[20:21], v[4:5] offset1:1
	ds_write2_b64 v19, v[6:7], v[0:1] offset0:2 offset1:3
	s_waitcnt lgkmcnt(0)
	s_barrier
	ds_read_u16 v0, v27
	ds_read_u16 v1, v23
	;; [unrolled: 1-line block ×3, first 2 shown]
	v_and_b32_e32 v3, 0xffff, v26
	s_waitcnt lgkmcnt(0)
	v_add_lshl_u32 v0, v0, v3, 1
	v_add_lshl_u32 v5, v1, v29, 1
	;; [unrolled: 1-line block ×3, first 2 shown]
	s_barrier
	ds_write_b16 v4, v25
	ds_write_b16 v5, v24
	;; [unrolled: 1-line block ×3, first 2 shown]
	s_waitcnt lgkmcnt(0)
	s_barrier
	ds_read_b32 v1, v18
	ds_read_u16 v2, v18 offset:4
	v_add_u32_e32 v3, v4, v4
	s_waitcnt lgkmcnt(0)
	s_barrier
	ds_write_b32 v3, v8
	v_add_u32_e32 v3, v5, v5
	v_add_u32_e32 v0, v0, v0
	ds_write_b32 v3, v9
	ds_write_b32 v0, v10
	s_waitcnt lgkmcnt(0)
	s_barrier
.LBB34_179:
	v_add_u32_e32 v0, v18, v13
	ds_read_b32 v6, v0 offset:8
	ds_read2_b32 v[4:5], v0 offset1:1
	v_xor_b32_e32 v0, -1, v2
	v_xor_b32_e32 v1, -1, v1
	global_store_short v[16:17], v0, off offset:4
	global_store_dword v[16:17], v1, off
	s_waitcnt lgkmcnt(0)
	global_store_dwordx3 v[14:15], v[4:6], off
	s_endpgm
	.section	.rodata,"a",@progbits
	.p2align	6, 0x0
	.amdhsa_kernel _Z21sort_key_value_kernelILj102ELj3ELb0ELb1EtiEvPT3_PT4_jj
		.amdhsa_group_segment_fixed_size 3280
		.amdhsa_private_segment_fixed_size 0
		.amdhsa_kernarg_size 24
		.amdhsa_user_sgpr_count 6
		.amdhsa_user_sgpr_private_segment_buffer 1
		.amdhsa_user_sgpr_dispatch_ptr 0
		.amdhsa_user_sgpr_queue_ptr 0
		.amdhsa_user_sgpr_kernarg_segment_ptr 1
		.amdhsa_user_sgpr_dispatch_id 0
		.amdhsa_user_sgpr_flat_scratch_init 0
		.amdhsa_user_sgpr_kernarg_preload_length 0
		.amdhsa_user_sgpr_kernarg_preload_offset 0
		.amdhsa_user_sgpr_private_segment_size 0
		.amdhsa_uses_dynamic_stack 0
		.amdhsa_system_sgpr_private_segment_wavefront_offset 0
		.amdhsa_system_sgpr_workgroup_id_x 1
		.amdhsa_system_sgpr_workgroup_id_y 0
		.amdhsa_system_sgpr_workgroup_id_z 0
		.amdhsa_system_sgpr_workgroup_info 0
		.amdhsa_system_vgpr_workitem_id 0
		.amdhsa_next_free_vgpr 49
		.amdhsa_next_free_sgpr 47
		.amdhsa_accum_offset 52
		.amdhsa_reserve_vcc 1
		.amdhsa_reserve_flat_scratch 0
		.amdhsa_float_round_mode_32 0
		.amdhsa_float_round_mode_16_64 0
		.amdhsa_float_denorm_mode_32 3
		.amdhsa_float_denorm_mode_16_64 3
		.amdhsa_dx10_clamp 1
		.amdhsa_ieee_mode 1
		.amdhsa_fp16_overflow 0
		.amdhsa_tg_split 0
		.amdhsa_exception_fp_ieee_invalid_op 0
		.amdhsa_exception_fp_denorm_src 0
		.amdhsa_exception_fp_ieee_div_zero 0
		.amdhsa_exception_fp_ieee_overflow 0
		.amdhsa_exception_fp_ieee_underflow 0
		.amdhsa_exception_fp_ieee_inexact 0
		.amdhsa_exception_int_div_zero 0
	.end_amdhsa_kernel
	.section	.text._Z21sort_key_value_kernelILj102ELj3ELb0ELb1EtiEvPT3_PT4_jj,"axG",@progbits,_Z21sort_key_value_kernelILj102ELj3ELb0ELb1EtiEvPT3_PT4_jj,comdat
.Lfunc_end34:
	.size	_Z21sort_key_value_kernelILj102ELj3ELb0ELb1EtiEvPT3_PT4_jj, .Lfunc_end34-_Z21sort_key_value_kernelILj102ELj3ELb0ELb1EtiEvPT3_PT4_jj
                                        ; -- End function
	.section	.AMDGPU.csdata,"",@progbits
; Kernel info:
; codeLenInByte = 7648
; NumSgprs: 51
; NumVgprs: 49
; NumAgprs: 0
; TotalNumVgprs: 49
; ScratchSize: 0
; MemoryBound: 0
; FloatMode: 240
; IeeeMode: 1
; LDSByteSize: 3280 bytes/workgroup (compile time only)
; SGPRBlocks: 6
; VGPRBlocks: 6
; NumSGPRsForWavesPerEU: 51
; NumVGPRsForWavesPerEU: 49
; AccumOffset: 52
; Occupancy: 8
; WaveLimiterHint : 0
; COMPUTE_PGM_RSRC2:SCRATCH_EN: 0
; COMPUTE_PGM_RSRC2:USER_SGPR: 6
; COMPUTE_PGM_RSRC2:TRAP_HANDLER: 0
; COMPUTE_PGM_RSRC2:TGID_X_EN: 1
; COMPUTE_PGM_RSRC2:TGID_Y_EN: 0
; COMPUTE_PGM_RSRC2:TGID_Z_EN: 0
; COMPUTE_PGM_RSRC2:TIDIG_COMP_CNT: 0
; COMPUTE_PGM_RSRC3_GFX90A:ACCUM_OFFSET: 12
; COMPUTE_PGM_RSRC3_GFX90A:TG_SPLIT: 0
	.section	.text._Z21sort_key_value_kernelILj64ELj1ELb0ELb0EycEvPT3_PT4_jj,"axG",@progbits,_Z21sort_key_value_kernelILj64ELj1ELb0ELb0EycEvPT3_PT4_jj,comdat
	.protected	_Z21sort_key_value_kernelILj64ELj1ELb0ELb0EycEvPT3_PT4_jj ; -- Begin function _Z21sort_key_value_kernelILj64ELj1ELb0ELb0EycEvPT3_PT4_jj
	.globl	_Z21sort_key_value_kernelILj64ELj1ELb0ELb0EycEvPT3_PT4_jj
	.p2align	8
	.type	_Z21sort_key_value_kernelILj64ELj1ELb0ELb0EycEvPT3_PT4_jj,@function
_Z21sort_key_value_kernelILj64ELj1ELb0ELb0EycEvPT3_PT4_jj: ; @_Z21sort_key_value_kernelILj64ELj1ELb0ELb0EycEvPT3_PT4_jj
; %bb.0:
	s_load_dwordx4 s[0:3], s[4:5], 0x0
	s_load_dwordx2 s[22:23], s[4:5], 0x10
	s_lshl_b32 s6, s6, 6
	s_mov_b32 s7, 0
	s_lshl_b64 s[8:9], s[6:7], 3
	s_waitcnt lgkmcnt(0)
	s_add_u32 s18, s0, s8
	s_addc_u32 s19, s1, s9
	v_and_b32_e32 v2, 0x3ff, v0
	s_add_u32 s20, s2, s6
	v_lshlrev_b32_e32 v3, 3, v2
	s_addc_u32 s21, s3, 0
	global_load_dwordx2 v[4:5], v3, s[18:19]
	global_load_ubyte v13, v2, s[20:21]
	s_load_dword s4, s[4:5], 0x24
	s_cmp_eq_u32 s22, 0
	s_cselect_b64 s[0:1], -1, 0
	s_cmp_eq_u32 s23, 64
	s_cselect_b64 s[2:3], -1, 0
	s_and_b64 s[24:25], s[0:1], s[2:3]
	s_waitcnt lgkmcnt(0)
	s_lshr_b32 s0, s4, 16
	v_bfe_u32 v1, v0, 10, 10
	v_bfe_u32 v0, v0, 20, 10
	s_and_b32 s1, s4, 0xffff
	v_mad_u32_u24 v0, v0, s0, v1
	v_mad_u64_u32 v[0:1], s[0:1], v0, s1, v[2:3]
	v_lshrrev_b32_e32 v16, 6, v0
	v_mbcnt_lo_u32_b32 v0, -1, 0
	v_mbcnt_hi_u32_b32 v17, -1, v0
	v_and_b32_e32 v0, 15, v17
	v_cmp_eq_u32_e64 s[0:1], 0, v0
	v_cmp_lt_u32_e64 s[2:3], 1, v0
	v_cmp_lt_u32_e64 s[4:5], 3, v0
	;; [unrolled: 1-line block ×3, first 2 shown]
	v_and_b32_e32 v0, 16, v17
	v_cmp_eq_u32_e64 s[8:9], 0, v0
	v_add_u32_e32 v0, -1, v17
	v_and_b32_e32 v1, 64, v17
	v_cmp_lt_i32_e32 vcc, v0, v1
	v_lshlrev_b32_e32 v14, 4, v2
	v_cndmask_b32_e32 v0, v0, v17, vcc
	v_cmp_eq_u32_e32 vcc, 0, v17
	v_cmp_eq_u32_e64 s[14:15], 0, v2
	v_mov_b32_e32 v20, s19
	v_mov_b32_e32 v12, s21
	v_or_b32_e32 v15, 4, v14
	v_cmp_lt_u32_e64 s[10:11], 31, v17
	v_cmp_eq_u32_e64 s[12:13], 63, v2
	v_lshlrev_b32_e32 v18, 2, v0
	s_or_b64 s[16:17], s[14:15], vcc
	v_lshlrev_b32_e32 v19, 3, v17
	s_and_b64 vcc, exec, s[24:25]
	s_cbranch_vccnz .LBB35_10
; %bb.1:
	s_sub_i32 s19, s23, s22
	v_mov_b32_e32 v0, 0
	s_waitcnt vmcnt(0)
	v_mov_b32_e32 v11, v13
	v_pk_mov_b32 v[8:9], v[4:5], v[4:5] op_sel:[0,1]
	s_branch .LBB35_3
.LBB35_2:                               ;   in Loop: Header=BB35_3 Depth=1
	; wave barrier
	ds_write_b64 v10, v[6:7]
	s_waitcnt lgkmcnt(0)
	; wave barrier
	s_waitcnt lgkmcnt(0)
	ds_read_b64 v[8:9], v19
	s_waitcnt lgkmcnt(0)
	; wave barrier
	s_waitcnt lgkmcnt(0)
	ds_write_b8 v1, v21
	s_waitcnt lgkmcnt(0)
	; wave barrier
	s_waitcnt lgkmcnt(0)
	ds_read_u8 v11, v17
	s_add_i32 s19, s19, -8
	s_waitcnt lgkmcnt(0)
	; wave barrier
	s_waitcnt lgkmcnt(0)
	s_cbranch_execz .LBB35_9
.LBB35_3:                               ; =>This Inner Loop Header: Depth=1
	v_pk_mov_b32 v[6:7], v[8:9], v[8:9] op_sel:[0,1]
	s_min_u32 s14, s19, 8
	v_lshrrev_b64 v[8:9], s22, v[6:7]
	v_bfe_u32 v8, v8, 0, s14
	v_add_u32_e32 v1, v8, v16
	v_lshl_add_u32 v22, v1, 2, 4
	v_and_b32_e32 v1, 1, v8
	v_add_co_u32_e32 v9, vcc, -1, v1
	v_addc_co_u32_e64 v10, s[14:15], 0, -1, vcc
	v_cmp_ne_u32_e32 vcc, 0, v1
	v_xor_b32_e32 v1, vcc_hi, v10
	v_and_b32_e32 v10, exec_hi, v1
	v_lshlrev_b32_e32 v1, 30, v8
	v_xor_b32_e32 v9, vcc_lo, v9
	v_cmp_gt_i64_e32 vcc, 0, v[0:1]
	v_not_b32_e32 v1, v1
	v_ashrrev_i32_e32 v1, 31, v1
	v_mov_b32_e32 v21, v11
	v_and_b32_e32 v9, exec_lo, v9
	v_xor_b32_e32 v11, vcc_hi, v1
	v_xor_b32_e32 v1, vcc_lo, v1
	v_and_b32_e32 v9, v9, v1
	v_lshlrev_b32_e32 v1, 29, v8
	v_cmp_gt_i64_e32 vcc, 0, v[0:1]
	v_not_b32_e32 v1, v1
	v_ashrrev_i32_e32 v1, 31, v1
	v_and_b32_e32 v10, v10, v11
	v_xor_b32_e32 v11, vcc_hi, v1
	v_xor_b32_e32 v1, vcc_lo, v1
	v_and_b32_e32 v9, v9, v1
	v_lshlrev_b32_e32 v1, 28, v8
	v_cmp_gt_i64_e32 vcc, 0, v[0:1]
	v_not_b32_e32 v1, v1
	v_ashrrev_i32_e32 v1, 31, v1
	v_and_b32_e32 v10, v10, v11
	;; [unrolled: 8-line block ×5, first 2 shown]
	v_xor_b32_e32 v11, vcc_hi, v1
	v_xor_b32_e32 v1, vcc_lo, v1
	v_and_b32_e32 v10, v10, v11
	v_and_b32_e32 v11, v9, v1
	v_lshlrev_b32_e32 v1, 24, v8
	v_cmp_gt_i64_e32 vcc, 0, v[0:1]
	v_not_b32_e32 v1, v1
	v_ashrrev_i32_e32 v1, 31, v1
	v_xor_b32_e32 v8, vcc_hi, v1
	v_xor_b32_e32 v1, vcc_lo, v1
	v_and_b32_e32 v9, v10, v8
	v_and_b32_e32 v8, v11, v1
	v_mbcnt_lo_u32_b32 v1, v8, 0
	v_mbcnt_hi_u32_b32 v1, v9, v1
	v_cmp_eq_u32_e32 vcc, 0, v1
	v_cmp_ne_u64_e64 s[14:15], 0, v[8:9]
	s_and_b64 s[24:25], s[14:15], vcc
	ds_write2_b32 v14, v0, v0 offset0:1 offset1:2
	ds_write2_b32 v15, v0, v0 offset0:2 offset1:3
	s_waitcnt lgkmcnt(0)
	; wave barrier
	s_waitcnt lgkmcnt(0)
	; wave barrier
	s_and_saveexec_b64 s[14:15], s[24:25]
	s_cbranch_execz .LBB35_5
; %bb.4:                                ;   in Loop: Header=BB35_3 Depth=1
	v_bcnt_u32_b32 v8, v8, 0
	v_bcnt_u32_b32 v8, v9, v8
	ds_write_b32 v22, v8
.LBB35_5:                               ;   in Loop: Header=BB35_3 Depth=1
	s_or_b64 exec, exec, s[14:15]
	; wave barrier
	s_waitcnt lgkmcnt(0)
	; wave barrier
	s_waitcnt lgkmcnt(0)
	ds_read2_b32 v[10:11], v14 offset0:1 offset1:2
	ds_read2_b32 v[8:9], v15 offset0:2 offset1:3
	s_waitcnt lgkmcnt(1)
	v_add_u32_e32 v23, v11, v10
	s_waitcnt lgkmcnt(0)
	v_add3_u32 v9, v23, v8, v9
	s_nop 1
	v_mov_b32_dpp v23, v9 row_shr:1 row_mask:0xf bank_mask:0xf
	v_cndmask_b32_e64 v23, v23, 0, s[0:1]
	v_add_u32_e32 v9, v23, v9
	s_nop 1
	v_mov_b32_dpp v23, v9 row_shr:2 row_mask:0xf bank_mask:0xf
	v_cndmask_b32_e64 v23, 0, v23, s[2:3]
	v_add_u32_e32 v9, v9, v23
	;; [unrolled: 4-line block ×4, first 2 shown]
	s_nop 1
	v_mov_b32_dpp v23, v9 row_bcast:15 row_mask:0xf bank_mask:0xf
	v_cndmask_b32_e64 v23, v23, 0, s[8:9]
	v_add_u32_e32 v9, v9, v23
	s_nop 1
	v_mov_b32_dpp v23, v9 row_bcast:31 row_mask:0xf bank_mask:0xf
	v_cndmask_b32_e64 v23, 0, v23, s[10:11]
	v_add_u32_e32 v9, v9, v23
	s_and_saveexec_b64 s[14:15], s[12:13]
	s_cbranch_execz .LBB35_7
; %bb.6:                                ;   in Loop: Header=BB35_3 Depth=1
	ds_write_b32 v0, v9
.LBB35_7:                               ;   in Loop: Header=BB35_3 Depth=1
	s_or_b64 exec, exec, s[14:15]
	ds_bpermute_b32 v9, v18, v9
	s_waitcnt lgkmcnt(0)
	; wave barrier
	s_waitcnt lgkmcnt(0)
	s_add_i32 s22, s22, 8
	s_cmp_ge_u32 s22, s23
	v_cndmask_b32_e64 v9, v9, 0, s[16:17]
	v_add_u32_e32 v10, v9, v10
	v_add_u32_e32 v11, v10, v11
	;; [unrolled: 1-line block ×3, first 2 shown]
	ds_write2_b32 v14, v9, v10 offset0:1 offset1:2
	ds_write2_b32 v15, v11, v8 offset0:2 offset1:3
	s_waitcnt lgkmcnt(0)
	; wave barrier
	s_waitcnt lgkmcnt(0)
	ds_read_b32 v8, v22
	s_waitcnt lgkmcnt(0)
	v_add_u32_e32 v1, v8, v1
	v_lshlrev_b32_e32 v10, 3, v1
	s_cbranch_scc0 .LBB35_2
; %bb.8:
                                        ; implicit-def: $vgpr8_vgpr9
                                        ; implicit-def: $vgpr11
                                        ; implicit-def: $sgpr19
.LBB35_9:
	; wave barrier
	ds_write_b64 v10, v[6:7]
	s_waitcnt lgkmcnt(0)
	; wave barrier
	s_waitcnt lgkmcnt(0)
	ds_read_b64 v[8:9], v3
	s_waitcnt lgkmcnt(0)
	; wave barrier
	s_waitcnt lgkmcnt(0)
	ds_write_b8 v1, v21
	s_waitcnt lgkmcnt(0)
	; wave barrier
	s_mov_b64 s[14:15], 0
	s_branch .LBB35_11
.LBB35_10:
	s_mov_b64 s[14:15], -1
                                        ; implicit-def: $vgpr8_vgpr9
.LBB35_11:
	v_add_co_u32_e32 v0, vcc, s18, v3
	v_addc_co_u32_e32 v1, vcc, 0, v20, vcc
	v_add_co_u32_e32 v6, vcc, s20, v2
	v_addc_co_u32_e32 v7, vcc, 0, v12, vcc
	s_and_b64 vcc, exec, s[14:15]
	s_cbranch_vccz .LBB35_21
; %bb.12:
	s_mov_b64 s[18:19], 0
	v_mov_b32_e32 v8, 0
	s_branch .LBB35_14
.LBB35_13:                              ;   in Loop: Header=BB35_14 Depth=1
	v_mad_u64_u32 v[4:5], s[14:15], v12, 7, v[12:13]
	s_waitcnt lgkmcnt(0)
	; wave barrier
	ds_write_b64 v4, v[10:11]
	s_waitcnt lgkmcnt(0)
	; wave barrier
	s_waitcnt lgkmcnt(0)
	ds_read_b64 v[4:5], v19
	s_waitcnt lgkmcnt(0)
	; wave barrier
	s_waitcnt lgkmcnt(0)
	ds_write_b8 v12, v20
	s_waitcnt lgkmcnt(0)
	; wave barrier
	s_waitcnt lgkmcnt(0)
	ds_read_u8 v13, v17
	s_add_u32 s18, s18, 8
	s_addc_u32 s19, s19, 0
	s_waitcnt lgkmcnt(0)
	; wave barrier
	s_waitcnt lgkmcnt(0)
	s_cbranch_execz .LBB35_20
.LBB35_14:                              ; =>This Inner Loop Header: Depth=1
	s_waitcnt vmcnt(1)
	v_pk_mov_b32 v[10:11], v[4:5], v[4:5] op_sel:[0,1]
	v_lshrrev_b64 v[4:5], s18, v[10:11]
	v_add_u32_sdwa v5, v4, v16 dst_sel:DWORD dst_unused:UNUSED_PAD src0_sel:BYTE_0 src1_sel:DWORD
	v_lshl_add_u32 v21, v5, 2, 4
	v_and_b32_e32 v5, 1, v4
	v_add_co_u32_e32 v9, vcc, -1, v5
	v_addc_co_u32_e64 v12, s[14:15], 0, -1, vcc
	v_cmp_ne_u32_e32 vcc, 0, v5
	v_xor_b32_e32 v9, vcc_lo, v9
	v_xor_b32_e32 v5, vcc_hi, v12
	v_and_b32_e32 v12, exec_lo, v9
	v_lshlrev_b32_e32 v9, 30, v4
	v_cmp_gt_i64_e32 vcc, 0, v[8:9]
	v_not_b32_e32 v9, v9
	v_ashrrev_i32_e32 v9, 31, v9
	s_waitcnt vmcnt(0)
	v_mov_b32_e32 v20, v13
	v_xor_b32_e32 v13, vcc_hi, v9
	v_xor_b32_e32 v9, vcc_lo, v9
	v_and_b32_e32 v12, v12, v9
	v_lshlrev_b32_e32 v9, 29, v4
	v_cmp_gt_i64_e32 vcc, 0, v[8:9]
	v_not_b32_e32 v9, v9
	v_and_b32_e32 v5, exec_hi, v5
	v_ashrrev_i32_e32 v9, 31, v9
	v_and_b32_e32 v5, v5, v13
	v_xor_b32_e32 v13, vcc_hi, v9
	v_xor_b32_e32 v9, vcc_lo, v9
	v_and_b32_e32 v12, v12, v9
	v_lshlrev_b32_e32 v9, 28, v4
	v_cmp_gt_i64_e32 vcc, 0, v[8:9]
	v_not_b32_e32 v9, v9
	v_ashrrev_i32_e32 v9, 31, v9
	v_and_b32_e32 v5, v5, v13
	v_xor_b32_e32 v13, vcc_hi, v9
	v_xor_b32_e32 v9, vcc_lo, v9
	v_and_b32_e32 v12, v12, v9
	v_lshlrev_b32_e32 v9, 27, v4
	v_cmp_gt_i64_e32 vcc, 0, v[8:9]
	v_not_b32_e32 v9, v9
	;; [unrolled: 8-line block ×4, first 2 shown]
	v_ashrrev_i32_e32 v9, 31, v9
	v_and_b32_e32 v5, v5, v13
	v_xor_b32_e32 v13, vcc_hi, v9
	v_xor_b32_e32 v9, vcc_lo, v9
	v_and_b32_e32 v12, v12, v9
	v_lshlrev_b32_e32 v9, 24, v4
	v_not_b32_e32 v4, v9
	v_cmp_gt_i64_e32 vcc, 0, v[8:9]
	v_ashrrev_i32_e32 v4, 31, v4
	v_xor_b32_e32 v9, vcc_hi, v4
	v_xor_b32_e32 v4, vcc_lo, v4
	v_and_b32_e32 v5, v5, v13
	v_and_b32_e32 v4, v12, v4
	;; [unrolled: 1-line block ×3, first 2 shown]
	v_mbcnt_lo_u32_b32 v9, v4, 0
	v_mbcnt_hi_u32_b32 v9, v5, v9
	v_cmp_eq_u32_e32 vcc, 0, v9
	v_cmp_ne_u64_e64 s[14:15], 0, v[4:5]
	s_and_b64 s[20:21], s[14:15], vcc
	ds_write2_b32 v14, v8, v8 offset0:1 offset1:2
	ds_write2_b32 v15, v8, v8 offset0:2 offset1:3
	s_waitcnt lgkmcnt(0)
	; wave barrier
	s_waitcnt lgkmcnt(0)
	; wave barrier
	s_and_saveexec_b64 s[14:15], s[20:21]
	s_cbranch_execz .LBB35_16
; %bb.15:                               ;   in Loop: Header=BB35_14 Depth=1
	v_bcnt_u32_b32 v4, v4, 0
	v_bcnt_u32_b32 v4, v5, v4
	ds_write_b32 v21, v4
.LBB35_16:                              ;   in Loop: Header=BB35_14 Depth=1
	s_or_b64 exec, exec, s[14:15]
	; wave barrier
	s_waitcnt lgkmcnt(0)
	; wave barrier
	s_waitcnt lgkmcnt(0)
	ds_read2_b32 v[12:13], v14 offset0:1 offset1:2
	ds_read2_b32 v[4:5], v15 offset0:2 offset1:3
	s_waitcnt lgkmcnt(1)
	v_add_u32_e32 v22, v13, v12
	s_waitcnt lgkmcnt(0)
	v_add3_u32 v5, v22, v4, v5
	s_nop 1
	v_mov_b32_dpp v22, v5 row_shr:1 row_mask:0xf bank_mask:0xf
	v_cndmask_b32_e64 v22, v22, 0, s[0:1]
	v_add_u32_e32 v5, v22, v5
	s_nop 1
	v_mov_b32_dpp v22, v5 row_shr:2 row_mask:0xf bank_mask:0xf
	v_cndmask_b32_e64 v22, 0, v22, s[2:3]
	v_add_u32_e32 v5, v5, v22
	;; [unrolled: 4-line block ×4, first 2 shown]
	s_nop 1
	v_mov_b32_dpp v22, v5 row_bcast:15 row_mask:0xf bank_mask:0xf
	v_cndmask_b32_e64 v22, v22, 0, s[8:9]
	v_add_u32_e32 v5, v5, v22
	s_nop 1
	v_mov_b32_dpp v22, v5 row_bcast:31 row_mask:0xf bank_mask:0xf
	v_cndmask_b32_e64 v22, 0, v22, s[10:11]
	v_add_u32_e32 v5, v5, v22
	s_and_saveexec_b64 s[14:15], s[12:13]
	s_cbranch_execz .LBB35_18
; %bb.17:                               ;   in Loop: Header=BB35_14 Depth=1
	ds_write_b32 v8, v5
.LBB35_18:                              ;   in Loop: Header=BB35_14 Depth=1
	s_or_b64 exec, exec, s[14:15]
	ds_bpermute_b32 v5, v18, v5
	s_waitcnt lgkmcnt(0)
	; wave barrier
	s_waitcnt lgkmcnt(0)
	s_cmp_gt_u32 s18, 55
	v_cndmask_b32_e64 v5, v5, 0, s[16:17]
	v_add_u32_e32 v12, v5, v12
	v_add_u32_e32 v13, v12, v13
	;; [unrolled: 1-line block ×3, first 2 shown]
	ds_write2_b32 v14, v5, v12 offset0:1 offset1:2
	ds_write2_b32 v15, v13, v4 offset0:2 offset1:3
	s_waitcnt lgkmcnt(0)
	; wave barrier
	s_waitcnt lgkmcnt(0)
	ds_read_b32 v4, v21
	s_waitcnt lgkmcnt(0)
	v_add_u32_e32 v12, v4, v9
	s_cbranch_scc0 .LBB35_13
; %bb.19:
                                        ; implicit-def: $vgpr4_vgpr5
                                        ; implicit-def: $vgpr13
                                        ; implicit-def: $sgpr18_sgpr19
.LBB35_20:
	v_mad_u64_u32 v[4:5], s[0:1], v12, 7, v[12:13]
	s_waitcnt lgkmcnt(0)
	; wave barrier
	ds_write_b64 v4, v[10:11]
	s_waitcnt lgkmcnt(0)
	; wave barrier
	s_waitcnt lgkmcnt(0)
	ds_read_b64 v[8:9], v3
	s_waitcnt lgkmcnt(0)
	; wave barrier
	s_waitcnt lgkmcnt(0)
	ds_write_b8 v12, v20
	s_waitcnt lgkmcnt(0)
	; wave barrier
.LBB35_21:
	s_waitcnt lgkmcnt(0)
	ds_read_u8 v2, v2
	global_store_dwordx2 v[0:1], v[8:9], off
	s_waitcnt lgkmcnt(0)
	global_store_byte v[6:7], v2, off
	s_endpgm
	.section	.rodata,"a",@progbits
	.p2align	6, 0x0
	.amdhsa_kernel _Z21sort_key_value_kernelILj64ELj1ELb0ELb0EycEvPT3_PT4_jj
		.amdhsa_group_segment_fixed_size 1040
		.amdhsa_private_segment_fixed_size 0
		.amdhsa_kernarg_size 280
		.amdhsa_user_sgpr_count 6
		.amdhsa_user_sgpr_private_segment_buffer 1
		.amdhsa_user_sgpr_dispatch_ptr 0
		.amdhsa_user_sgpr_queue_ptr 0
		.amdhsa_user_sgpr_kernarg_segment_ptr 1
		.amdhsa_user_sgpr_dispatch_id 0
		.amdhsa_user_sgpr_flat_scratch_init 0
		.amdhsa_user_sgpr_kernarg_preload_length 0
		.amdhsa_user_sgpr_kernarg_preload_offset 0
		.amdhsa_user_sgpr_private_segment_size 0
		.amdhsa_uses_dynamic_stack 0
		.amdhsa_system_sgpr_private_segment_wavefront_offset 0
		.amdhsa_system_sgpr_workgroup_id_x 1
		.amdhsa_system_sgpr_workgroup_id_y 0
		.amdhsa_system_sgpr_workgroup_id_z 0
		.amdhsa_system_sgpr_workgroup_info 0
		.amdhsa_system_vgpr_workitem_id 2
		.amdhsa_next_free_vgpr 24
		.amdhsa_next_free_sgpr 26
		.amdhsa_accum_offset 24
		.amdhsa_reserve_vcc 1
		.amdhsa_reserve_flat_scratch 0
		.amdhsa_float_round_mode_32 0
		.amdhsa_float_round_mode_16_64 0
		.amdhsa_float_denorm_mode_32 3
		.amdhsa_float_denorm_mode_16_64 3
		.amdhsa_dx10_clamp 1
		.amdhsa_ieee_mode 1
		.amdhsa_fp16_overflow 0
		.amdhsa_tg_split 0
		.amdhsa_exception_fp_ieee_invalid_op 0
		.amdhsa_exception_fp_denorm_src 0
		.amdhsa_exception_fp_ieee_div_zero 0
		.amdhsa_exception_fp_ieee_overflow 0
		.amdhsa_exception_fp_ieee_underflow 0
		.amdhsa_exception_fp_ieee_inexact 0
		.amdhsa_exception_int_div_zero 0
	.end_amdhsa_kernel
	.section	.text._Z21sort_key_value_kernelILj64ELj1ELb0ELb0EycEvPT3_PT4_jj,"axG",@progbits,_Z21sort_key_value_kernelILj64ELj1ELb0ELb0EycEvPT3_PT4_jj,comdat
.Lfunc_end35:
	.size	_Z21sort_key_value_kernelILj64ELj1ELb0ELb0EycEvPT3_PT4_jj, .Lfunc_end35-_Z21sort_key_value_kernelILj64ELj1ELb0ELb0EycEvPT3_PT4_jj
                                        ; -- End function
	.section	.AMDGPU.csdata,"",@progbits
; Kernel info:
; codeLenInByte = 2056
; NumSgprs: 30
; NumVgprs: 24
; NumAgprs: 0
; TotalNumVgprs: 24
; ScratchSize: 0
; MemoryBound: 0
; FloatMode: 240
; IeeeMode: 1
; LDSByteSize: 1040 bytes/workgroup (compile time only)
; SGPRBlocks: 3
; VGPRBlocks: 2
; NumSGPRsForWavesPerEU: 30
; NumVGPRsForWavesPerEU: 24
; AccumOffset: 24
; Occupancy: 8
; WaveLimiterHint : 0
; COMPUTE_PGM_RSRC2:SCRATCH_EN: 0
; COMPUTE_PGM_RSRC2:USER_SGPR: 6
; COMPUTE_PGM_RSRC2:TRAP_HANDLER: 0
; COMPUTE_PGM_RSRC2:TGID_X_EN: 1
; COMPUTE_PGM_RSRC2:TGID_Y_EN: 0
; COMPUTE_PGM_RSRC2:TGID_Z_EN: 0
; COMPUTE_PGM_RSRC2:TIDIG_COMP_CNT: 2
; COMPUTE_PGM_RSRC3_GFX90A:ACCUM_OFFSET: 5
; COMPUTE_PGM_RSRC3_GFX90A:TG_SPLIT: 0
	.section	.text._Z21sort_key_value_kernelILj234ELj9ELb0ELb0EsiEvPT3_PT4_jj,"axG",@progbits,_Z21sort_key_value_kernelILj234ELj9ELb0ELb0EsiEvPT3_PT4_jj,comdat
	.protected	_Z21sort_key_value_kernelILj234ELj9ELb0ELb0EsiEvPT3_PT4_jj ; -- Begin function _Z21sort_key_value_kernelILj234ELj9ELb0ELb0EsiEvPT3_PT4_jj
	.globl	_Z21sort_key_value_kernelILj234ELj9ELb0ELb0EsiEvPT3_PT4_jj
	.p2align	8
	.type	_Z21sort_key_value_kernelILj234ELj9ELb0ELb0EsiEvPT3_PT4_jj,@function
_Z21sort_key_value_kernelILj234ELj9ELb0ELb0EsiEvPT3_PT4_jj: ; @_Z21sort_key_value_kernelILj234ELj9ELb0ELb0EsiEvPT3_PT4_jj
; %bb.0:
	s_load_dwordx4 s[0:3], s[4:5], 0x0
	s_load_dwordx2 s[30:31], s[4:5], 0x10
	s_mul_i32 s4, s6, 0x83a
	s_mov_b32 s5, 0
	s_lshl_b64 s[6:7], s[4:5], 1
	s_waitcnt lgkmcnt(0)
	s_add_u32 s26, s0, s6
	s_addc_u32 s27, s1, s7
	s_lshl_b64 s[0:1], s[4:5], 2
	v_mul_u32_u24_e32 v1, 9, v0
	s_add_u32 s28, s2, s0
	v_lshlrev_b32_e32 v35, 1, v1
	s_addc_u32 s29, s3, s1
	v_lshlrev_b32_e32 v36, 2, v1
	global_load_ushort v14, v35, s[26:27] offset:16
	global_load_dwordx4 v[10:13], v35, s[26:27]
	global_load_dword v33, v36, s[28:29] offset:32
	global_load_dwordx4 v[6:9], v36, s[28:29] offset:16
	global_load_dwordx4 v[2:5], v36, s[28:29]
	v_mbcnt_lo_u32_b32 v1, -1, 0
	v_mbcnt_hi_u32_b32 v1, -1, v1
	s_cmp_eq_u32 s30, 0
	v_and_b32_e32 v15, 0xc0, v0
	v_add_u32_e32 v20, -1, v1
	v_and_b32_e32 v21, 64, v1
	s_cselect_b64 s[24:25], -1, 0
	s_cmp_eq_u32 s31, 16
	s_movk_i32 s8, 0xffe4
	s_mov_b32 s9, 0x1181182
	v_lshlrev_b32_e32 v29, 5, v0
	v_lshrrev_b32_e32 v16, 4, v0
	v_sub_u32_e32 v17, 0x665, v0
	v_min_u32_e32 v15, 0xaa, v15
	v_cmp_lt_i32_e32 vcc, v20, v21
	s_cselect_b64 s[34:35], -1, 0
	v_and_b32_e32 v18, 15, v1
	v_and_b32_e32 v19, 16, v1
	v_cmp_lt_u32_e64 s[4:5], 31, v1
	v_cmp_eq_u32_e64 s[6:7], 0, v1
	v_and_b32_e32 v30, 12, v16
	v_mad_i32_i24 v31, v0, s8, v29
	v_and_b32_e32 v16, 3, v1
	v_mul_hi_u32 v17, v17, s9
	v_add_u32_e32 v15, 63, v15
	v_cndmask_b32_e32 v1, v20, v1, vcc
	s_and_b64 s[24:25], s[24:25], s[34:35]
	v_cmp_gt_u32_e64 s[0:1], 4, v0
	v_cmp_lt_u32_e64 s[2:3], 63, v0
	v_mul_u32_u24_e32 v23, 18, v0
	v_cmp_eq_u32_e64 s[8:9], 0, v18
	v_cmp_lt_u32_e64 s[10:11], 1, v18
	v_cmp_lt_u32_e64 s[12:13], 3, v18
	v_cmp_lt_u32_e64 s[14:15], 7, v18
	v_cmp_eq_u32_e64 s[16:17], 0, v19
	v_cmp_eq_u32_e64 s[18:19], 0, v16
	v_cmp_lt_u32_e64 s[20:21], 1, v16
	v_mad_u32_u24 v28, v0, 14, v31
	v_add_u32_e32 v37, 3, v17
	v_add_u32_e32 v22, 1, v17
	v_cmp_eq_u32_e64 s[22:23], v15, v0
	v_lshlrev_b32_e32 v32, 2, v1
	v_mov_b32_e32 v39, s27
	v_mov_b32_e32 v38, s29
	s_and_b64 vcc, exec, s[24:25]
	s_waitcnt vmcnt(4)
	v_xor_b32_e32 v34, 0xffff8000, v14
	s_waitcnt vmcnt(3)
	v_xor_b32_e32 v10, 0x80008000, v10
	v_xor_b32_e32 v11, 0x80008000, v11
	;; [unrolled: 1-line block ×4, first 2 shown]
	s_cbranch_vccnz .LBB36_18
; %bb.1:
	v_and_b32_e32 v42, 30, v37
	v_mov_b32_e32 v1, v22
	v_mov_b32_e32 v48, 0
	s_waitcnt vmcnt(0)
	v_mov_b32_e32 v18, v2
	v_mov_b32_e32 v19, v3
	;; [unrolled: 1-line block ×14, first 2 shown]
	s_branch .LBB36_3
.LBB36_2:                               ;   in Loop: Header=BB36_3 Depth=1
	v_lshl_add_u32 v18, v68, 1, v77
	s_barrier
	ds_write_b16 v77, v55
	ds_write_b16 v76, v56
	;; [unrolled: 1-line block ×9, first 2 shown]
	s_waitcnt lgkmcnt(0)
	s_barrier
	ds_read_b128 v[14:17], v28
	ds_read_u16 v78, v28 offset:16
	s_waitcnt lgkmcnt(0)
	s_barrier
	ds_write_b32 v18, v50
	v_lshl_add_u32 v18, v67, 1, v76
	ds_write_b32 v18, v49
	v_lshl_add_u32 v18, v65, 1, v75
	;; [unrolled: 2-line block ×8, first 2 shown]
	v_add_u32_e32 v79, v28, v23
	ds_write_b32 v18, v40
	s_waitcnt lgkmcnt(0)
	s_barrier
	ds_read2_b32 v[18:19], v79 offset1:1
	ds_read2_b32 v[20:21], v79 offset0:2 offset1:3
	ds_read2_b32 v[24:25], v79 offset0:4 offset1:5
	;; [unrolled: 1-line block ×3, first 2 shown]
	ds_read_b32 v79, v79 offset:32
	s_waitcnt lgkmcnt(0)
	s_barrier
	s_cbranch_execz .LBB36_17
.LBB36_3:                               ; =>This Loop Header: Depth=1
                                        ;     Child Loop BB36_5 Depth 2
	v_mov_b32_e32 v51, v78
	v_mov_b32_e32 v52, v17
	;; [unrolled: 1-line block ×14, first 2 shown]
	s_mov_b64 s[34:35], 0
	v_mov_b32_e32 v14, v31
	s_mov_b32 s27, 0
	s_branch .LBB36_5
.LBB36_4:                               ;   in Loop: Header=BB36_5 Depth=2
	s_or_b64 exec, exec, s[24:25]
	s_add_i32 s27, s27, 2
	v_cmp_eq_u32_e32 vcc, s27, v42
	s_or_b64 s[34:35], vcc, s[34:35]
	v_add_u32_e32 v14, 0x750, v14
	s_andn2_b64 exec, exec, s[34:35]
	s_cbranch_execz .LBB36_9
.LBB36_5:                               ;   Parent Loop BB36_3 Depth=1
                                        ; =>  This Inner Loop Header: Depth=2
	s_or_b32 s24, s27, 1
	v_cmp_le_u32_e32 vcc, s24, v1
	v_cmp_le_u32_e64 s[24:25], s27, v22
	s_and_saveexec_b64 s[36:37], s[24:25]
	s_cbranch_execz .LBB36_7
; %bb.6:                                ;   in Loop: Header=BB36_5 Depth=2
	ds_write_b32 v14, v48
.LBB36_7:                               ;   in Loop: Header=BB36_5 Depth=2
	s_or_b64 exec, exec, s[36:37]
	s_and_saveexec_b64 s[24:25], vcc
	s_cbranch_execz .LBB36_4
; %bb.8:                                ;   in Loop: Header=BB36_5 Depth=2
	ds_write_b32 v14, v48 offset:936
	s_branch .LBB36_4
.LBB36_9:                               ;   in Loop: Header=BB36_3 Depth=1
	s_or_b64 exec, exec, s[34:35]
	s_sub_i32 s24, s31, s30
	s_min_u32 s24, s24, 4
	s_lshl_b32 s24, -1, s24
	s_not_b32 s24, s24
	v_lshrrev_b32_sdwa v14, s30, v55 dst_sel:DWORD dst_unused:UNUSED_PAD src0_sel:DWORD src1_sel:WORD_0
	v_and_b32_e32 v14, s24, v14
	v_and_b32_e32 v15, 7, v14
	v_mul_u32_u24_e32 v15, 0xea, v15
	v_lshrrev_b32_e32 v14, 3, v14
	v_add_lshl_u32 v15, v15, v0, 1
	v_add_lshl_u32 v26, v15, v14, 1
	ds_read_u16 v24, v26
	v_lshrrev_b32_e32 v56, 16, v55
	v_lshrrev_b32_e32 v14, s30, v56
	v_and_b32_e32 v14, s24, v14
	v_lshrrev_b32_e32 v57, 16, v54
	s_waitcnt lgkmcnt(0)
	v_add_u16_e32 v15, 1, v24
	ds_write_b16 v26, v15
	v_and_b32_e32 v15, 7, v14
	v_mul_u32_u24_e32 v15, 0xea, v15
	v_lshrrev_b32_e32 v14, 3, v14
	v_add_lshl_u32 v15, v15, v0, 1
	v_add_lshl_u32 v60, v15, v14, 1
	ds_read_u16 v25, v60
	v_lshrrev_b32_e32 v58, 16, v53
	v_lshrrev_b32_e32 v59, 16, v52
	s_waitcnt lgkmcnt(0)
	v_add_u16_e32 v14, 1, v25
	ds_write_b16 v60, v14
	v_lshrrev_b32_sdwa v14, s30, v54 dst_sel:DWORD dst_unused:UNUSED_PAD src0_sel:DWORD src1_sel:WORD_0
	v_and_b32_e32 v14, s24, v14
	v_and_b32_e32 v15, 7, v14
	v_mul_u32_u24_e32 v15, 0xea, v15
	v_lshrrev_b32_e32 v14, 3, v14
	v_add_lshl_u32 v15, v15, v0, 1
	v_add_lshl_u32 v62, v15, v14, 1
	ds_read_u16 v27, v62
	s_waitcnt lgkmcnt(0)
	v_add_u16_e32 v14, 1, v27
	ds_write_b16 v62, v14
	v_lshrrev_b32_e32 v14, s30, v57
	v_and_b32_e32 v14, s24, v14
	v_and_b32_e32 v15, 7, v14
	v_mul_u32_u24_e32 v15, 0xea, v15
	v_lshrrev_b32_e32 v14, 3, v14
	v_add_lshl_u32 v15, v15, v0, 1
	v_add_lshl_u32 v63, v15, v14, 1
	ds_read_u16 v61, v63
	s_waitcnt lgkmcnt(0)
	v_add_u16_e32 v14, 1, v61
	ds_write_b16 v63, v14
	v_lshrrev_b32_sdwa v14, s30, v53 dst_sel:DWORD dst_unused:UNUSED_PAD src0_sel:DWORD src1_sel:WORD_0
	v_and_b32_e32 v14, s24, v14
	v_and_b32_e32 v15, 7, v14
	v_mul_u32_u24_e32 v15, 0xea, v15
	v_lshrrev_b32_e32 v14, 3, v14
	v_add_lshl_u32 v15, v15, v0, 1
	v_add_lshl_u32 v65, v15, v14, 1
	ds_read_u16 v64, v65
	s_waitcnt lgkmcnt(0)
	v_add_u16_e32 v14, 1, v64
	ds_write_b16 v65, v14
	v_lshrrev_b32_e32 v14, s30, v58
	v_and_b32_e32 v14, s24, v14
	v_and_b32_e32 v15, 7, v14
	v_mul_u32_u24_e32 v15, 0xea, v15
	v_lshrrev_b32_e32 v14, 3, v14
	v_add_lshl_u32 v15, v15, v0, 1
	v_add_lshl_u32 v66, v15, v14, 1
	ds_read_u16 v69, v66
	;; [unrolled: 22-line block ×3, first 2 shown]
	s_waitcnt lgkmcnt(0)
	v_add_u16_e32 v14, 1, v71
	ds_write_b16 v68, v14
	v_lshrrev_b32_sdwa v14, s30, v51 dst_sel:DWORD dst_unused:UNUSED_PAD src0_sel:DWORD src1_sel:WORD_0
	v_and_b32_e32 v14, s24, v14
	v_and_b32_e32 v15, 7, v14
	v_mul_u32_u24_e32 v15, 0xea, v15
	v_lshrrev_b32_e32 v14, 3, v14
	v_add_lshl_u32 v15, v15, v0, 1
	v_add_lshl_u32 v73, v15, v14, 1
	ds_read_u16 v72, v73
	s_waitcnt lgkmcnt(0)
	v_add_u16_e32 v14, 1, v72
	ds_write_b16 v73, v14
	s_waitcnt lgkmcnt(0)
	s_barrier
	ds_read2_b64 v[18:21], v29 offset1:1
	ds_read2_b64 v[14:17], v29 offset0:2 offset1:3
	s_waitcnt lgkmcnt(1)
	v_add_u32_e32 v74, v19, v18
	v_add3_u32 v74, v74, v20, v21
	s_waitcnt lgkmcnt(0)
	v_add3_u32 v74, v74, v14, v15
	v_add3_u32 v17, v74, v16, v17
	s_nop 1
	v_mov_b32_dpp v74, v17 row_shr:1 row_mask:0xf bank_mask:0xf
	v_cndmask_b32_e64 v74, v74, 0, s[8:9]
	v_add_u32_e32 v17, v74, v17
	s_nop 1
	v_mov_b32_dpp v74, v17 row_shr:2 row_mask:0xf bank_mask:0xf
	v_cndmask_b32_e64 v74, 0, v74, s[10:11]
	v_add_u32_e32 v17, v17, v74
	;; [unrolled: 4-line block ×4, first 2 shown]
	s_nop 1
	v_mov_b32_dpp v74, v17 row_bcast:15 row_mask:0xf bank_mask:0xf
	v_cndmask_b32_e64 v74, v74, 0, s[16:17]
	v_add_u32_e32 v17, v17, v74
	s_nop 1
	v_mov_b32_dpp v74, v17 row_bcast:31 row_mask:0xf bank_mask:0xf
	v_cndmask_b32_e64 v74, 0, v74, s[4:5]
	v_add_u32_e32 v17, v17, v74
	s_and_saveexec_b64 s[24:25], s[22:23]
	s_cbranch_execz .LBB36_11
; %bb.10:                               ;   in Loop: Header=BB36_3 Depth=1
	ds_write_b32 v30, v17 offset:7488
.LBB36_11:                              ;   in Loop: Header=BB36_3 Depth=1
	s_or_b64 exec, exec, s[24:25]
	s_waitcnt lgkmcnt(0)
	s_barrier
	s_and_saveexec_b64 s[24:25], s[0:1]
	s_cbranch_execz .LBB36_13
; %bb.12:                               ;   in Loop: Header=BB36_3 Depth=1
	ds_read_b32 v74, v31 offset:7488
	s_waitcnt lgkmcnt(0)
	s_nop 0
	v_mov_b32_dpp v75, v74 row_shr:1 row_mask:0xf bank_mask:0xf
	v_cndmask_b32_e64 v75, v75, 0, s[18:19]
	v_add_u32_e32 v74, v75, v74
	s_nop 1
	v_mov_b32_dpp v75, v74 row_shr:2 row_mask:0xf bank_mask:0xf
	v_cndmask_b32_e64 v75, 0, v75, s[20:21]
	v_add_u32_e32 v74, v74, v75
	ds_write_b32 v31, v74 offset:7488
.LBB36_13:                              ;   in Loop: Header=BB36_3 Depth=1
	s_or_b64 exec, exec, s[24:25]
	v_mov_b32_e32 v74, 0
	s_waitcnt lgkmcnt(0)
	s_barrier
	s_and_saveexec_b64 s[24:25], s[2:3]
	s_cbranch_execz .LBB36_15
; %bb.14:                               ;   in Loop: Header=BB36_3 Depth=1
	ds_read_b32 v74, v30 offset:7484
.LBB36_15:                              ;   in Loop: Header=BB36_3 Depth=1
	s_or_b64 exec, exec, s[24:25]
	s_waitcnt lgkmcnt(0)
	v_add_u32_e32 v17, v74, v17
	ds_bpermute_b32 v17, v32, v17
	ds_read_b32 v75, v48 offset:7500
	s_add_i32 s30, s30, 4
	s_cmp_ge_u32 s30, s31
	s_waitcnt lgkmcnt(1)
	v_cndmask_b32_e64 v17, v17, v74, s[6:7]
	s_waitcnt lgkmcnt(0)
	v_lshl_add_u32 v74, v75, 16, v17
	v_add_u32_e32 v75, v74, v18
	v_add_u32_e32 v18, v75, v19
	v_add_u32_e32 v19, v18, v20
	v_add_u32_e32 v20, v19, v21
	v_add_u32_e32 v21, v20, v14
	v_add_u32_e32 v14, v21, v15
	v_add_u32_e32 v15, v14, v16
	ds_write2_b64 v29, v[74:75], v[18:19] offset1:1
	ds_write2_b64 v29, v[20:21], v[14:15] offset0:2 offset1:3
	s_waitcnt lgkmcnt(0)
	s_barrier
	ds_read_u16 v14, v26
	ds_read_u16 v15, v60
	;; [unrolled: 1-line block ×8, first 2 shown]
	s_waitcnt lgkmcnt(7)
	v_add_u32_sdwa v68, v14, v24 dst_sel:DWORD dst_unused:UNUSED_PAD src0_sel:DWORD src1_sel:WORD_0
	ds_read_u16 v14, v73
	s_waitcnt lgkmcnt(7)
	v_add_u32_sdwa v67, v15, v25 dst_sel:DWORD dst_unused:UNUSED_PAD src0_sel:DWORD src1_sel:WORD_0
	s_waitcnt lgkmcnt(6)
	v_add_u32_sdwa v65, v16, v27 dst_sel:DWORD dst_unused:UNUSED_PAD src0_sel:DWORD src1_sel:WORD_0
	;; [unrolled: 2-line block ×8, first 2 shown]
	v_lshlrev_b32_e32 v77, 1, v68
	v_lshlrev_b32_e32 v76, 1, v67
	;; [unrolled: 1-line block ×9, first 2 shown]
	s_cbranch_scc0 .LBB36_2
; %bb.16:
                                        ; implicit-def: $vgpr78
                                        ; implicit-def: $vgpr17
                                        ; implicit-def: $vgpr79
                                        ; implicit-def: $vgpr27
                                        ; implicit-def: $vgpr25
                                        ; implicit-def: $vgpr21
                                        ; implicit-def: $vgpr19
.LBB36_17:
	v_lshl_add_u32 v18, v68, 1, v77
	s_barrier
	ds_write_b16 v77, v55
	ds_write_b16 v76, v56
	;; [unrolled: 1-line block ×9, first 2 shown]
	s_waitcnt lgkmcnt(0)
	s_barrier
	ds_read_b128 v[14:17], v28
	ds_read_u16 v1, v28 offset:16
	s_waitcnt lgkmcnt(0)
	s_barrier
	ds_write_b32 v18, v50
	v_lshl_add_u32 v18, v67, 1, v76
	ds_write_b32 v18, v49
	v_lshl_add_u32 v18, v65, 1, v75
	;; [unrolled: 2-line block ×8, first 2 shown]
	ds_write_b32 v18, v40
	s_waitcnt lgkmcnt(0)
	s_barrier
	s_mov_b64 s[24:25], 0
	s_branch .LBB36_19
.LBB36_18:
	s_mov_b64 s[24:25], -1
                                        ; implicit-def: $vgpr1
                                        ; implicit-def: $vgpr17
.LBB36_19:
	v_add_co_u32_e32 v20, vcc, s26, v35
	v_addc_co_u32_e32 v21, vcc, 0, v39, vcc
	v_add_co_u32_e32 v18, vcc, s28, v36
	v_addc_co_u32_e32 v19, vcc, 0, v38, vcc
	s_and_b64 vcc, exec, s[24:25]
	s_cbranch_vccz .LBB36_37
; %bb.20:
	v_and_b32_e32 v14, 30, v37
	v_mov_b32_e32 v1, v22
	s_mov_b32 s31, 0
	v_mov_b32_e32 v16, 0
	s_movk_i32 s30, 0xea
	s_branch .LBB36_22
.LBB36_21:                              ;   in Loop: Header=BB36_22 Depth=1
	v_lshlrev_b32_e32 v2, 1, v55
	s_barrier
	ds_write_b16 v2, v42
	v_lshlrev_b32_e32 v3, 1, v54
	v_lshlrev_b32_e32 v4, 1, v53
	v_lshlrev_b32_e32 v5, 1, v51
	v_lshlrev_b32_e32 v6, 1, v48
	v_lshlrev_b32_e32 v7, 1, v52
	v_lshlrev_b32_e32 v8, 1, v49
	v_lshlrev_b32_e32 v9, 1, v47
	v_lshlrev_b32_e32 v33, 1, v50
	v_add_u32_e32 v2, v2, v2
	ds_write_b16 v3, v43
	ds_write_b16 v4, v41
	;; [unrolled: 1-line block ×8, first 2 shown]
	s_waitcnt lgkmcnt(0)
	s_barrier
	ds_read_b128 v[10:13], v28
	ds_read_u16 v34, v28 offset:16
	s_waitcnt lgkmcnt(0)
	s_barrier
	ds_write_b32 v2, v39
	v_add_u32_e32 v2, v3, v3
	ds_write_b32 v2, v38
	v_add_u32_e32 v2, v4, v4
	;; [unrolled: 2-line block ×8, first 2 shown]
	v_add_u32_e32 v33, v28, v23
	ds_write_b32 v2, v24
	s_waitcnt lgkmcnt(0)
	s_barrier
	ds_read2_b32 v[2:3], v33 offset1:1
	ds_read2_b32 v[4:5], v33 offset0:2 offset1:3
	ds_read2_b32 v[6:7], v33 offset0:4 offset1:5
	ds_read2_b32 v[8:9], v33 offset0:6 offset1:7
	ds_read_b32 v33, v33 offset:32
	s_add_i32 s31, s31, 4
	s_waitcnt lgkmcnt(0)
	s_barrier
	s_cbranch_execz .LBB36_36
.LBB36_22:                              ; =>This Loop Header: Depth=1
                                        ;     Child Loop BB36_24 Depth 2
	v_mov_b32_e32 v15, v34
	v_mov_b32_e32 v17, v13
	;; [unrolled: 1-line block ×5, first 2 shown]
	s_waitcnt vmcnt(2)
	v_mov_b32_e32 v24, v33
	s_waitcnt vmcnt(1)
	v_mov_b32_e32 v25, v9
	v_mov_b32_e32 v26, v8
	;; [unrolled: 1-line block ×4, first 2 shown]
	s_waitcnt vmcnt(0)
	v_mov_b32_e32 v36, v5
	v_mov_b32_e32 v37, v4
	;; [unrolled: 1-line block ×4, first 2 shown]
	s_mov_b64 s[26:27], 0
	v_mov_b32_e32 v2, v31
	s_mov_b32 s33, 0
	s_branch .LBB36_24
.LBB36_23:                              ;   in Loop: Header=BB36_24 Depth=2
	s_or_b64 exec, exec, s[24:25]
	s_add_i32 s33, s33, 2
	v_cmp_eq_u32_e32 vcc, s33, v14
	s_or_b64 s[26:27], vcc, s[26:27]
	v_add_u32_e32 v2, 0x750, v2
	s_andn2_b64 exec, exec, s[26:27]
	s_cbranch_execz .LBB36_28
.LBB36_24:                              ;   Parent Loop BB36_22 Depth=1
                                        ; =>  This Inner Loop Header: Depth=2
	s_or_b32 s24, s33, 1
	v_cmp_le_u32_e32 vcc, s24, v1
	v_cmp_le_u32_e64 s[24:25], s33, v22
	s_and_saveexec_b64 s[28:29], s[24:25]
	s_cbranch_execz .LBB36_26
; %bb.25:                               ;   in Loop: Header=BB36_24 Depth=2
	ds_write_b32 v2, v16
.LBB36_26:                              ;   in Loop: Header=BB36_24 Depth=2
	s_or_b64 exec, exec, s[28:29]
	s_and_saveexec_b64 s[24:25], vcc
	s_cbranch_execz .LBB36_23
; %bb.27:                               ;   in Loop: Header=BB36_24 Depth=2
	ds_write_b32 v2, v16 offset:936
	s_branch .LBB36_23
.LBB36_28:                              ;   in Loop: Header=BB36_22 Depth=1
	s_or_b64 exec, exec, s[26:27]
	v_and_b32_e32 v2, 0xffff, v42
	v_lshrrev_b32_e32 v3, s31, v2
	v_bfe_u32 v2, v2, s31, 3
	v_lshrrev_b32_e32 v3, 2, v3
	v_mad_u32_u24 v2, v2, s30, v0
	v_and_b32_e32 v3, 2, v3
	v_lshl_or_b32 v12, v2, 2, v3
	ds_read_u16 v10, v12
	v_lshrrev_b32_e32 v43, 16, v42
	v_lshrrev_b32_e32 v2, s31, v43
	;; [unrolled: 1-line block ×3, first 2 shown]
	v_and_b32_e32 v2, 2, v2
	s_waitcnt lgkmcnt(0)
	v_add_u16_e32 v3, 1, v10
	ds_write_b16 v12, v3
	v_bfe_u32 v3, v43, s31, 3
	v_mad_u32_u24 v3, v3, s30, v0
	v_lshl_or_b32 v33, v3, 2, v2
	ds_read_u16 v11, v33
	v_lshrrev_b32_e32 v44, 16, v41
	v_lshrrev_b32_e32 v45, 16, v40
	;; [unrolled: 1-line block ×3, first 2 shown]
	s_waitcnt lgkmcnt(0)
	v_add_u16_e32 v2, 1, v11
	ds_write_b16 v33, v2
	v_and_b32_e32 v2, 0xffff, v41
	v_lshrrev_b32_e32 v3, s31, v2
	v_bfe_u32 v2, v2, s31, 3
	v_lshrrev_b32_e32 v3, 2, v3
	v_mad_u32_u24 v2, v2, s30, v0
	v_and_b32_e32 v3, 2, v3
	v_lshl_or_b32 v47, v2, 2, v3
	ds_read_u16 v13, v47
	v_bfe_u32 v3, v44, s31, 3
	v_mad_u32_u24 v3, v3, s30, v0
	s_waitcnt lgkmcnt(0)
	v_add_u16_e32 v2, 1, v13
	ds_write_b16 v47, v2
	v_lshrrev_b32_e32 v2, s31, v44
	v_lshrrev_b32_e32 v2, 2, v2
	v_and_b32_e32 v2, 2, v2
	v_lshl_or_b32 v49, v3, 2, v2
	ds_read_u16 v34, v49
	s_waitcnt lgkmcnt(0)
	v_add_u16_e32 v2, 1, v34
	ds_write_b16 v49, v2
	v_and_b32_e32 v2, 0xffff, v40
	v_lshrrev_b32_e32 v3, s31, v2
	v_bfe_u32 v2, v2, s31, 3
	v_lshrrev_b32_e32 v3, 2, v3
	v_mad_u32_u24 v2, v2, s30, v0
	v_and_b32_e32 v3, 2, v3
	v_lshl_or_b32 v51, v2, 2, v3
	ds_read_u16 v48, v51
	v_bfe_u32 v3, v45, s31, 3
	v_mad_u32_u24 v3, v3, s30, v0
	s_waitcnt lgkmcnt(0)
	v_add_u16_e32 v2, 1, v48
	ds_write_b16 v51, v2
	v_lshrrev_b32_e32 v2, s31, v45
	v_lshrrev_b32_e32 v2, 2, v2
	v_and_b32_e32 v2, 2, v2
	v_lshl_or_b32 v52, v3, 2, v2
	ds_read_u16 v50, v52
	;; [unrolled: 21-line block ×3, first 2 shown]
	s_waitcnt lgkmcnt(0)
	v_add_u16_e32 v2, 1, v57
	ds_write_b16 v54, v2
	v_and_b32_e32 v2, 0xffff, v15
	v_lshrrev_b32_e32 v3, s31, v2
	v_bfe_u32 v2, v2, s31, 3
	v_lshrrev_b32_e32 v3, 2, v3
	v_mad_u32_u24 v2, v2, s30, v0
	v_and_b32_e32 v3, 2, v3
	v_lshl_or_b32 v59, v2, 2, v3
	ds_read_u16 v58, v59
	s_waitcnt lgkmcnt(0)
	v_add_u16_e32 v2, 1, v58
	ds_write_b16 v59, v2
	s_waitcnt lgkmcnt(0)
	s_barrier
	ds_read2_b64 v[6:9], v29 offset1:1
	ds_read2_b64 v[2:5], v29 offset0:2 offset1:3
	s_waitcnt lgkmcnt(1)
	v_add_u32_e32 v55, v7, v6
	v_add3_u32 v55, v55, v8, v9
	s_waitcnt lgkmcnt(0)
	v_add3_u32 v55, v55, v2, v3
	v_add3_u32 v5, v55, v4, v5
	s_nop 1
	v_mov_b32_dpp v55, v5 row_shr:1 row_mask:0xf bank_mask:0xf
	v_cndmask_b32_e64 v55, v55, 0, s[8:9]
	v_add_u32_e32 v5, v55, v5
	s_nop 1
	v_mov_b32_dpp v55, v5 row_shr:2 row_mask:0xf bank_mask:0xf
	v_cndmask_b32_e64 v55, 0, v55, s[10:11]
	v_add_u32_e32 v5, v5, v55
	;; [unrolled: 4-line block ×4, first 2 shown]
	s_nop 1
	v_mov_b32_dpp v55, v5 row_bcast:15 row_mask:0xf bank_mask:0xf
	v_cndmask_b32_e64 v55, v55, 0, s[16:17]
	v_add_u32_e32 v5, v5, v55
	s_nop 1
	v_mov_b32_dpp v55, v5 row_bcast:31 row_mask:0xf bank_mask:0xf
	v_cndmask_b32_e64 v55, 0, v55, s[4:5]
	v_add_u32_e32 v5, v5, v55
	s_and_saveexec_b64 s[24:25], s[22:23]
	s_cbranch_execz .LBB36_30
; %bb.29:                               ;   in Loop: Header=BB36_22 Depth=1
	ds_write_b32 v30, v5 offset:7488
.LBB36_30:                              ;   in Loop: Header=BB36_22 Depth=1
	s_or_b64 exec, exec, s[24:25]
	s_waitcnt lgkmcnt(0)
	s_barrier
	s_and_saveexec_b64 s[24:25], s[0:1]
	s_cbranch_execz .LBB36_32
; %bb.31:                               ;   in Loop: Header=BB36_22 Depth=1
	ds_read_b32 v55, v31 offset:7488
	s_waitcnt lgkmcnt(0)
	s_nop 0
	v_mov_b32_dpp v60, v55 row_shr:1 row_mask:0xf bank_mask:0xf
	v_cndmask_b32_e64 v60, v60, 0, s[18:19]
	v_add_u32_e32 v55, v60, v55
	s_nop 1
	v_mov_b32_dpp v60, v55 row_shr:2 row_mask:0xf bank_mask:0xf
	v_cndmask_b32_e64 v60, 0, v60, s[20:21]
	v_add_u32_e32 v55, v55, v60
	ds_write_b32 v31, v55 offset:7488
.LBB36_32:                              ;   in Loop: Header=BB36_22 Depth=1
	s_or_b64 exec, exec, s[24:25]
	v_mov_b32_e32 v55, 0
	s_waitcnt lgkmcnt(0)
	s_barrier
	s_and_saveexec_b64 s[24:25], s[2:3]
	s_cbranch_execz .LBB36_34
; %bb.33:                               ;   in Loop: Header=BB36_22 Depth=1
	ds_read_b32 v55, v30 offset:7484
.LBB36_34:                              ;   in Loop: Header=BB36_22 Depth=1
	s_or_b64 exec, exec, s[24:25]
	s_waitcnt lgkmcnt(0)
	v_add_u32_e32 v5, v55, v5
	ds_bpermute_b32 v5, v32, v5
	ds_read_b32 v60, v16 offset:7500
	s_cmp_gt_u32 s31, 11
	s_waitcnt lgkmcnt(1)
	v_cndmask_b32_e64 v5, v5, v55, s[6:7]
	s_waitcnt lgkmcnt(0)
	v_lshl_add_u32 v60, v60, 16, v5
	v_add_u32_e32 v61, v60, v6
	v_add_u32_e32 v6, v61, v7
	;; [unrolled: 1-line block ×7, first 2 shown]
	ds_write2_b64 v29, v[60:61], v[6:7] offset1:1
	ds_write2_b64 v29, v[8:9], v[2:3] offset0:2 offset1:3
	s_waitcnt lgkmcnt(0)
	s_barrier
	ds_read_u16 v2, v12
	ds_read_u16 v3, v33
	;; [unrolled: 1-line block ×8, first 2 shown]
	s_waitcnt lgkmcnt(7)
	v_add_u32_sdwa v55, v2, v10 dst_sel:DWORD dst_unused:UNUSED_PAD src0_sel:DWORD src1_sel:WORD_0
	ds_read_u16 v2, v59
	s_waitcnt lgkmcnt(7)
	v_add_u32_sdwa v54, v3, v11 dst_sel:DWORD dst_unused:UNUSED_PAD src0_sel:DWORD src1_sel:WORD_0
	s_waitcnt lgkmcnt(6)
	v_add_u32_sdwa v53, v4, v13 dst_sel:DWORD dst_unused:UNUSED_PAD src0_sel:DWORD src1_sel:WORD_0
	;; [unrolled: 2-line block ×8, first 2 shown]
	s_cbranch_scc0 .LBB36_21
; %bb.35:
                                        ; implicit-def: $vgpr34
                                        ; implicit-def: $vgpr13
                                        ; implicit-def: $vgpr33
                                        ; implicit-def: $vgpr9
                                        ; implicit-def: $vgpr5
                                        ; implicit-def: $sgpr31
.LBB36_36:
	v_lshlrev_b32_e32 v0, 1, v55
	s_barrier
	ds_write_b16 v0, v42
	v_lshlrev_b32_e32 v2, 1, v54
	v_lshlrev_b32_e32 v3, 1, v53
	;; [unrolled: 1-line block ×8, first 2 shown]
	v_add_u32_e32 v0, v0, v0
	ds_write_b16 v2, v43
	ds_write_b16 v3, v41
	;; [unrolled: 1-line block ×8, first 2 shown]
	s_waitcnt lgkmcnt(0)
	s_barrier
	ds_read_b128 v[14:17], v28
	ds_read_u16 v1, v28 offset:16
	s_waitcnt lgkmcnt(0)
	s_barrier
	ds_write_b32 v0, v39
	v_add_u32_e32 v0, v2, v2
	ds_write_b32 v0, v38
	v_add_u32_e32 v0, v3, v3
	;; [unrolled: 2-line block ×8, first 2 shown]
	ds_write_b32 v0, v24
	s_waitcnt lgkmcnt(0)
	s_barrier
.LBB36_37:
	s_movk_i32 s0, 0x8000
	v_add_u32_e32 v0, v28, v23
	v_xor_b32_e32 v13, 0xffff8000, v1
	v_xor_b32_e32 v22, 0xffff8000, v14
	v_xor_b32_sdwa v14, v14, s0 dst_sel:DWORD dst_unused:UNUSED_PAD src0_sel:WORD_1 src1_sel:DWORD
	v_xor_b32_e32 v1, 0xffff8000, v15
	s_waitcnt vmcnt(0)
	v_xor_b32_sdwa v4, v15, s0 dst_sel:DWORD dst_unused:UNUSED_PAD src0_sel:WORD_1 src1_sel:DWORD
	v_xor_b32_e32 v2, 0xffff8000, v16
	v_xor_b32_sdwa v5, v16, s0 dst_sel:DWORD dst_unused:UNUSED_PAD src0_sel:WORD_1 src1_sel:DWORD
	v_xor_b32_e32 v3, 0xffff8000, v17
	v_xor_b32_sdwa v6, v17, s0 dst_sel:DWORD dst_unused:UNUSED_PAD src0_sel:WORD_1 src1_sel:DWORD
	s_mov_b32 s0, 0x5040100
	ds_read_b32 v12, v0 offset:32
	v_perm_b32 v3, v6, v3, s0
	v_perm_b32 v2, v5, v2, s0
	;; [unrolled: 1-line block ×3, first 2 shown]
	ds_read2_b32 v[4:5], v0 offset1:1
	ds_read2_b32 v[6:7], v0 offset0:2 offset1:3
	ds_read2_b32 v[8:9], v0 offset0:4 offset1:5
	;; [unrolled: 1-line block ×3, first 2 shown]
	v_perm_b32 v0, v14, v22, s0
	global_store_dwordx4 v[20:21], v[0:3], off
	global_store_short v[20:21], v13, off offset:16
	s_waitcnt lgkmcnt(2)
	global_store_dwordx4 v[18:19], v[4:7], off
	s_waitcnt lgkmcnt(0)
	global_store_dwordx4 v[18:19], v[8:11], off offset:16
	global_store_dword v[18:19], v12, off offset:32
	s_endpgm
	.section	.rodata,"a",@progbits
	.p2align	6, 0x0
	.amdhsa_kernel _Z21sort_key_value_kernelILj234ELj9ELb0ELb0EsiEvPT3_PT4_jj
		.amdhsa_group_segment_fixed_size 8432
		.amdhsa_private_segment_fixed_size 0
		.amdhsa_kernarg_size 24
		.amdhsa_user_sgpr_count 6
		.amdhsa_user_sgpr_private_segment_buffer 1
		.amdhsa_user_sgpr_dispatch_ptr 0
		.amdhsa_user_sgpr_queue_ptr 0
		.amdhsa_user_sgpr_kernarg_segment_ptr 1
		.amdhsa_user_sgpr_dispatch_id 0
		.amdhsa_user_sgpr_flat_scratch_init 0
		.amdhsa_user_sgpr_kernarg_preload_length 0
		.amdhsa_user_sgpr_kernarg_preload_offset 0
		.amdhsa_user_sgpr_private_segment_size 0
		.amdhsa_uses_dynamic_stack 0
		.amdhsa_system_sgpr_private_segment_wavefront_offset 0
		.amdhsa_system_sgpr_workgroup_id_x 1
		.amdhsa_system_sgpr_workgroup_id_y 0
		.amdhsa_system_sgpr_workgroup_id_z 0
		.amdhsa_system_sgpr_workgroup_info 0
		.amdhsa_system_vgpr_workitem_id 0
		.amdhsa_next_free_vgpr 80
		.amdhsa_next_free_sgpr 38
		.amdhsa_accum_offset 80
		.amdhsa_reserve_vcc 1
		.amdhsa_reserve_flat_scratch 0
		.amdhsa_float_round_mode_32 0
		.amdhsa_float_round_mode_16_64 0
		.amdhsa_float_denorm_mode_32 3
		.amdhsa_float_denorm_mode_16_64 3
		.amdhsa_dx10_clamp 1
		.amdhsa_ieee_mode 1
		.amdhsa_fp16_overflow 0
		.amdhsa_tg_split 0
		.amdhsa_exception_fp_ieee_invalid_op 0
		.amdhsa_exception_fp_denorm_src 0
		.amdhsa_exception_fp_ieee_div_zero 0
		.amdhsa_exception_fp_ieee_overflow 0
		.amdhsa_exception_fp_ieee_underflow 0
		.amdhsa_exception_fp_ieee_inexact 0
		.amdhsa_exception_int_div_zero 0
	.end_amdhsa_kernel
	.section	.text._Z21sort_key_value_kernelILj234ELj9ELb0ELb0EsiEvPT3_PT4_jj,"axG",@progbits,_Z21sort_key_value_kernelILj234ELj9ELb0ELb0EsiEvPT3_PT4_jj,comdat
.Lfunc_end36:
	.size	_Z21sort_key_value_kernelILj234ELj9ELb0ELb0EsiEvPT3_PT4_jj, .Lfunc_end36-_Z21sort_key_value_kernelILj234ELj9ELb0ELb0EsiEvPT3_PT4_jj
                                        ; -- End function
	.section	.AMDGPU.csdata,"",@progbits
; Kernel info:
; codeLenInByte = 4800
; NumSgprs: 42
; NumVgprs: 80
; NumAgprs: 0
; TotalNumVgprs: 80
; ScratchSize: 0
; MemoryBound: 0
; FloatMode: 240
; IeeeMode: 1
; LDSByteSize: 8432 bytes/workgroup (compile time only)
; SGPRBlocks: 5
; VGPRBlocks: 9
; NumSGPRsForWavesPerEU: 42
; NumVGPRsForWavesPerEU: 80
; AccumOffset: 80
; Occupancy: 6
; WaveLimiterHint : 0
; COMPUTE_PGM_RSRC2:SCRATCH_EN: 0
; COMPUTE_PGM_RSRC2:USER_SGPR: 6
; COMPUTE_PGM_RSRC2:TRAP_HANDLER: 0
; COMPUTE_PGM_RSRC2:TGID_X_EN: 1
; COMPUTE_PGM_RSRC2:TGID_Y_EN: 0
; COMPUTE_PGM_RSRC2:TGID_Z_EN: 0
; COMPUTE_PGM_RSRC2:TIDIG_COMP_CNT: 0
; COMPUTE_PGM_RSRC3_GFX90A:ACCUM_OFFSET: 19
; COMPUTE_PGM_RSRC3_GFX90A:TG_SPLIT: 0
	.section	.text._Z21sort_key_value_kernelILj100ELj3ELb0ELb0EtiEvPT3_PT4_jj,"axG",@progbits,_Z21sort_key_value_kernelILj100ELj3ELb0ELb0EtiEvPT3_PT4_jj,comdat
	.protected	_Z21sort_key_value_kernelILj100ELj3ELb0ELb0EtiEvPT3_PT4_jj ; -- Begin function _Z21sort_key_value_kernelILj100ELj3ELb0ELb0EtiEvPT3_PT4_jj
	.globl	_Z21sort_key_value_kernelILj100ELj3ELb0ELb0EtiEvPT3_PT4_jj
	.p2align	8
	.type	_Z21sort_key_value_kernelILj100ELj3ELb0ELb0EtiEvPT3_PT4_jj,@function
_Z21sort_key_value_kernelILj100ELj3ELb0ELb0EtiEvPT3_PT4_jj: ; @_Z21sort_key_value_kernelILj100ELj3ELb0ELb0EtiEvPT3_PT4_jj
; %bb.0:
	s_load_dwordx4 s[0:3], s[4:5], 0x0
	s_load_dwordx2 s[36:37], s[4:5], 0x10
	s_mul_i32 s4, s6, 0x12c
	s_mov_b32 s5, 0
	s_lshl_b64 s[6:7], s[4:5], 1
	s_waitcnt lgkmcnt(0)
	s_add_u32 s30, s0, s6
	s_addc_u32 s31, s1, s7
	s_lshl_b64 s[0:1], s[4:5], 2
	v_mul_u32_u24_e32 v1, 3, v0
	s_add_u32 s34, s2, s0
	v_lshlrev_b32_e32 v15, 1, v1
	s_addc_u32 s35, s3, s1
	v_lshlrev_b32_e32 v26, 2, v1
	global_load_dword v25, v15, s[30:31]
	global_load_ushort v24, v15, s[30:31] offset:4
	global_load_dwordx3 v[10:12], v26, s[34:35]
	v_mbcnt_lo_u32_b32 v1, -1, 0
	v_mbcnt_hi_u32_b32 v1, -1, v1
	v_and_b32_e32 v2, 15, v1
	v_cmp_eq_u32_e64 s[20:21], 0, v2
	v_cmp_lt_u32_e64 s[18:19], 1, v2
	v_cmp_lt_u32_e64 s[16:17], 3, v2
	;; [unrolled: 1-line block ×3, first 2 shown]
	v_and_b32_e32 v2, 16, v1
	v_cmp_eq_u32_e64 s[12:13], 0, v2
	v_and_b32_e32 v2, 64, v0
	v_min_u32_e32 v2, 36, v2
	s_cmp_eq_u32 s36, 0
	v_add_u32_e32 v2, 63, v2
	s_cselect_b64 s[0:1], -1, 0
	s_cmp_eq_u32 s37, 16
	v_cmp_eq_u32_e64 s[10:11], v2, v0
	v_add_u32_e32 v2, -1, v1
	v_and_b32_e32 v3, 64, v1
	s_cselect_b64 s[2:3], -1, 0
	v_cmp_lt_i32_e32 vcc, v2, v3
	s_and_b64 s[24:25], s[0:1], s[2:3]
	s_movk_i32 s0, 0x320
	v_lshlrev_b32_e32 v19, 5, v0
	v_cndmask_b32_e32 v2, v2, v1, vcc
	s_movk_i32 s6, 0xffe4
	v_cmp_gt_u32_e64 s[22:23], s0, v0
	v_cmp_lt_u32_e64 s[8:9], 31, v1
	v_lshlrev_b32_e32 v20, 2, v2
	v_cmp_eq_u32_e64 s[0:1], 0, v1
	v_lshrrev_b32_e32 v2, 4, v0
	v_mad_i32_i24 v22, v0, s6, v19
	v_and_b32_e32 v1, 1, v1
	v_mov_b32_e32 v17, s31
	v_mov_b32_e32 v27, s35
	v_cmp_gt_u32_e64 s[4:5], 2, v0
	v_cmp_lt_u32_e64 s[2:3], 63, v0
	v_and_b32_e32 v21, 4, v2
	v_mul_i32_i24_e32 v23, 0xffffffe4, v0
	v_cmp_eq_u32_e64 s[6:7], 0, v1
	v_lshl_add_u32 v13, v0, 1, v22
	v_mul_u32_u24_e32 v18, 6, v0
	s_and_b64 vcc, exec, s[24:25]
	s_cbranch_vccnz .LBB37_40
; %bb.1:
	s_movk_i32 s24, 0x2bc
	v_mov_b32_e32 v1, 0x2bc
	v_cmp_gt_u32_e32 vcc, s24, v0
	v_subb_co_u32_e64 v1, s[24:25], v1, v0, vcc
	s_mov_b32 s24, 0x28f5c29
	v_mul_hi_u32 v1, v1, s24
	v_addc_co_u32_e32 v14, vcc, 0, v1, vcc
	v_lshrrev_b32_e32 v1, 1, v14
	v_add_u32_e32 v2, 1, v1
	v_and_b32_e32 v3, 3, v2
	v_and_b32_e32 v29, 12, v2
	v_mov_b32_e32 v2, 0x320
	v_mov_b32_e32 v1, v14
	v_cmp_lt_u32_e64 s[24:25], 5, v14
	v_cmp_ne_u32_e64 s[26:27], 0, v3
	v_lshl_add_u32 v31, v0, 2, v2
	v_lshl_add_u32 v16, v0, 5, v23
	s_movk_i32 s31, 0x190
	v_mul_u32_u24_e32 v33, 0x190, v3
	v_mov_b32_e32 v34, 0
	s_waitcnt vmcnt(0)
	v_mov_b32_e32 v2, v10
	v_mov_b32_e32 v3, v11
	;; [unrolled: 1-line block ×5, first 2 shown]
	s_branch .LBB37_3
.LBB37_2:                               ;   in Loop: Header=BB37_3 Depth=1
	v_add_u32_e32 v2, v7, v7
	s_barrier
	ds_write_b16 v7, v36
	ds_write_b16 v6, v37
	;; [unrolled: 1-line block ×3, first 2 shown]
	s_waitcnt lgkmcnt(0)
	s_barrier
	ds_read_b32 v36, v13
	ds_read_u16 v8, v13 offset:4
	s_waitcnt lgkmcnt(0)
	s_barrier
	ds_write_b32 v2, v32
	v_add_u32_e32 v2, v6, v6
	ds_write_b32 v2, v30
	v_add_u32_e32 v2, v4, v4
	v_add_u32_e32 v9, v13, v18
	ds_write_b32 v2, v28
	s_waitcnt lgkmcnt(0)
	s_barrier
	ds_read2_b32 v[2:3], v9 offset1:1
	ds_read_b32 v9, v9 offset:8
	s_waitcnt lgkmcnt(0)
	s_barrier
	s_cbranch_execz .LBB37_39
.LBB37_3:                               ; =>This Loop Header: Depth=1
                                        ;     Child Loop BB37_7 Depth 2
                                        ;     Child Loop BB37_27 Depth 2
	v_mov_b32_e32 v35, v8
	v_mov_b32_e32 v28, v9
	;; [unrolled: 1-line block ×4, first 2 shown]
	s_and_saveexec_b64 s[38:39], s[22:23]
	s_cbranch_execz .LBB37_31
; %bb.4:                                ;   in Loop: Header=BB37_3 Depth=1
	v_mov_b32_e32 v5, 0
	s_and_saveexec_b64 s[40:41], s[24:25]
	s_cbranch_execz .LBB37_24
; %bb.5:                                ;   in Loop: Header=BB37_3 Depth=1
	s_mov_b32 s33, 0
	s_mov_b64 s[42:43], 0
	v_mov_b32_e32 v2, v29
	v_mov_b32_e32 v3, v31
	v_mov_b32_e32 v4, v22
	s_branch .LBB37_7
.LBB37_6:                               ;   in Loop: Header=BB37_7 Depth=2
	s_or_b64 exec, exec, s[28:29]
	v_add_u32_e32 v2, -4, v2
	s_add_i32 s28, s33, 8
	v_cmp_eq_u32_e32 vcc, 0, v2
	s_add_i32 s33, s35, 2
	v_add_u32_e32 v4, 0xc80, v4
	v_add_u32_e32 v3, 0xc80, v3
	s_or_b64 s[42:43], vcc, s[42:43]
	v_mov_b32_e32 v5, s28
	s_andn2_b64 exec, exec, s[42:43]
	s_cbranch_execz .LBB37_23
.LBB37_7:                               ;   Parent Loop BB37_3 Depth=1
                                        ; =>  This Inner Loop Header: Depth=2
	s_or_b32 s28, s33, 1
	v_cmp_le_u32_e32 vcc, s28, v1
	v_cmp_le_u32_e64 s[28:29], s33, v14
	s_and_saveexec_b64 s[44:45], s[28:29]
	s_cbranch_execz .LBB37_9
; %bb.8:                                ;   in Loop: Header=BB37_7 Depth=2
	ds_write_b32 v4, v34
.LBB37_9:                               ;   in Loop: Header=BB37_7 Depth=2
	s_or_b64 exec, exec, s[44:45]
	s_and_saveexec_b64 s[28:29], vcc
	s_cbranch_execz .LBB37_11
; %bb.10:                               ;   in Loop: Header=BB37_7 Depth=2
	ds_write_b32 v4, v34 offset:400
.LBB37_11:                              ;   in Loop: Header=BB37_7 Depth=2
	s_or_b64 exec, exec, s[28:29]
	s_add_i32 s35, s33, 2
	s_add_i32 s28, s33, 3
	v_cmp_le_u32_e32 vcc, s28, v1
	v_cmp_le_u32_e64 s[28:29], s35, v14
	s_and_saveexec_b64 s[44:45], s[28:29]
	s_cbranch_execz .LBB37_13
; %bb.12:                               ;   in Loop: Header=BB37_7 Depth=2
	ds_write_b32 v3, v34
.LBB37_13:                              ;   in Loop: Header=BB37_7 Depth=2
	s_or_b64 exec, exec, s[44:45]
	s_and_saveexec_b64 s[28:29], vcc
	s_cbranch_execz .LBB37_15
; %bb.14:                               ;   in Loop: Header=BB37_7 Depth=2
	ds_write_b32 v3, v34 offset:400
.LBB37_15:                              ;   in Loop: Header=BB37_7 Depth=2
	s_or_b64 exec, exec, s[28:29]
	s_add_i32 s46, s35, 2
	s_add_i32 s35, s35, 3
	v_cmp_le_u32_e32 vcc, s35, v1
	v_cmp_le_u32_e64 s[28:29], s46, v14
	s_and_saveexec_b64 s[44:45], s[28:29]
	s_cbranch_execz .LBB37_17
; %bb.16:                               ;   in Loop: Header=BB37_7 Depth=2
	ds_write_b32 v3, v34 offset:800
.LBB37_17:                              ;   in Loop: Header=BB37_7 Depth=2
	s_or_b64 exec, exec, s[44:45]
	s_and_saveexec_b64 s[28:29], vcc
	s_cbranch_execz .LBB37_19
; %bb.18:                               ;   in Loop: Header=BB37_7 Depth=2
	ds_write_b32 v3, v34 offset:1200
.LBB37_19:                              ;   in Loop: Header=BB37_7 Depth=2
	s_or_b64 exec, exec, s[28:29]
	s_add_i32 s35, s46, 2
	s_add_i32 s46, s46, 3
	v_cmp_le_u32_e32 vcc, s46, v1
	v_cmp_le_u32_e64 s[28:29], s35, v14
	s_and_saveexec_b64 s[44:45], s[28:29]
	s_cbranch_execz .LBB37_21
; %bb.20:                               ;   in Loop: Header=BB37_7 Depth=2
	ds_write_b32 v3, v34 offset:1600
.LBB37_21:                              ;   in Loop: Header=BB37_7 Depth=2
	s_or_b64 exec, exec, s[44:45]
	s_and_saveexec_b64 s[28:29], vcc
	s_cbranch_execz .LBB37_6
; %bb.22:                               ;   in Loop: Header=BB37_7 Depth=2
	ds_write_b32 v3, v34 offset:2000
	s_branch .LBB37_6
.LBB37_23:                              ;   in Loop: Header=BB37_3 Depth=1
	s_or_b64 exec, exec, s[42:43]
.LBB37_24:                              ;   in Loop: Header=BB37_3 Depth=1
	s_or_b64 exec, exec, s[40:41]
	s_and_b64 exec, exec, s[26:27]
	s_cbranch_execz .LBB37_31
; %bb.25:                               ;   in Loop: Header=BB37_3 Depth=1
	v_mad_u64_u32 v[2:3], s[28:29], v5, s31, v[16:17]
	s_mov_b64 s[40:41], 0
	v_mov_b32_e32 v3, v33
	s_branch .LBB37_27
.LBB37_26:                              ;   in Loop: Header=BB37_27 Depth=2
	s_or_b64 exec, exec, s[28:29]
	v_add_u32_e32 v3, 0xfffffe70, v3
	v_cmp_eq_u32_e32 vcc, 0, v3
	v_add_u32_e32 v5, 2, v5
	s_or_b64 s[40:41], vcc, s[40:41]
	v_add_u32_e32 v2, 0x320, v2
	s_andn2_b64 exec, exec, s[40:41]
	s_cbranch_execz .LBB37_31
.LBB37_27:                              ;   Parent Loop BB37_3 Depth=1
                                        ; =>  This Inner Loop Header: Depth=2
	v_or_b32_e32 v4, 1, v5
	v_cmp_le_u32_e32 vcc, v4, v1
	v_cmp_le_u32_e64 s[28:29], v5, v14
	s_and_saveexec_b64 s[42:43], s[28:29]
	s_cbranch_execz .LBB37_29
; %bb.28:                               ;   in Loop: Header=BB37_27 Depth=2
	ds_write_b32 v2, v34
.LBB37_29:                              ;   in Loop: Header=BB37_27 Depth=2
	s_or_b64 exec, exec, s[42:43]
	s_and_saveexec_b64 s[28:29], vcc
	s_cbranch_execz .LBB37_26
; %bb.30:                               ;   in Loop: Header=BB37_27 Depth=2
	ds_write_b32 v2, v34 offset:400
	s_branch .LBB37_26
.LBB37_31:                              ;   in Loop: Header=BB37_3 Depth=1
	s_or_b64 exec, exec, s[38:39]
	s_sub_i32 s28, s37, s36
	s_min_u32 s28, s28, 4
	s_lshl_b32 s28, -1, s28
	s_not_b32 s28, s28
	v_lshrrev_b32_sdwa v2, s36, v36 dst_sel:DWORD dst_unused:UNUSED_PAD src0_sel:DWORD src1_sel:WORD_0
	v_and_b32_e32 v2, s28, v2
	v_and_b32_e32 v3, 7, v2
	v_mul_u32_u24_e32 v3, 0x64, v3
	v_lshrrev_b32_e32 v2, 3, v2
	v_add_lshl_u32 v3, v3, v0, 1
	v_add_lshl_u32 v38, v3, v2, 1
	ds_read_u16 v41, v38
	v_lshrrev_b32_e32 v37, 16, v36
	v_lshrrev_b32_e32 v2, s36, v37
	v_and_b32_e32 v2, s28, v2
	s_waitcnt lgkmcnt(0)
	v_add_u16_e32 v3, 1, v41
	ds_write_b16 v38, v3
	v_and_b32_e32 v3, 7, v2
	v_mul_u32_u24_e32 v3, 0x64, v3
	v_lshrrev_b32_e32 v2, 3, v2
	v_add_lshl_u32 v3, v3, v0, 1
	v_add_lshl_u32 v39, v3, v2, 1
	ds_read_u16 v42, v39
	s_waitcnt lgkmcnt(0)
	v_add_u16_e32 v2, 1, v42
	ds_write_b16 v39, v2
	v_lshrrev_b32_sdwa v2, s36, v35 dst_sel:DWORD dst_unused:UNUSED_PAD src0_sel:DWORD src1_sel:WORD_0
	v_and_b32_e32 v2, s28, v2
	v_and_b32_e32 v3, 7, v2
	v_mul_u32_u24_e32 v3, 0x64, v3
	v_lshrrev_b32_e32 v2, 3, v2
	v_add_lshl_u32 v3, v3, v0, 1
	v_add_lshl_u32 v40, v3, v2, 1
	ds_read_u16 v43, v40
	s_waitcnt lgkmcnt(0)
	v_add_u16_e32 v2, 1, v43
	ds_write_b16 v40, v2
	s_waitcnt lgkmcnt(0)
	s_barrier
	ds_read2_b64 v[6:9], v19 offset1:1
	ds_read2_b64 v[2:5], v19 offset0:2 offset1:3
	s_waitcnt lgkmcnt(1)
	v_add_u32_e32 v44, v7, v6
	v_add3_u32 v44, v44, v8, v9
	s_waitcnt lgkmcnt(0)
	v_add3_u32 v44, v44, v2, v3
	v_add3_u32 v5, v44, v4, v5
	s_nop 1
	v_mov_b32_dpp v44, v5 row_shr:1 row_mask:0xf bank_mask:0xf
	v_cndmask_b32_e64 v44, v44, 0, s[20:21]
	v_add_u32_e32 v5, v44, v5
	s_nop 1
	v_mov_b32_dpp v44, v5 row_shr:2 row_mask:0xf bank_mask:0xf
	v_cndmask_b32_e64 v44, 0, v44, s[18:19]
	v_add_u32_e32 v5, v5, v44
	;; [unrolled: 4-line block ×4, first 2 shown]
	s_nop 1
	v_mov_b32_dpp v44, v5 row_bcast:15 row_mask:0xf bank_mask:0xf
	v_cndmask_b32_e64 v44, v44, 0, s[12:13]
	v_add_u32_e32 v5, v5, v44
	s_nop 1
	v_mov_b32_dpp v44, v5 row_bcast:31 row_mask:0xf bank_mask:0xf
	v_cndmask_b32_e64 v44, 0, v44, s[8:9]
	v_add_u32_e32 v44, v5, v44
	s_and_saveexec_b64 s[28:29], s[10:11]
	s_cbranch_execz .LBB37_33
; %bb.32:                               ;   in Loop: Header=BB37_3 Depth=1
	ds_write_b32 v21, v44 offset:3200
.LBB37_33:                              ;   in Loop: Header=BB37_3 Depth=1
	s_or_b64 exec, exec, s[28:29]
	s_waitcnt lgkmcnt(0)
	s_barrier
	s_and_saveexec_b64 s[28:29], s[4:5]
	s_cbranch_execz .LBB37_35
; %bb.34:                               ;   in Loop: Header=BB37_3 Depth=1
	ds_read_b32 v5, v22 offset:3200
	s_waitcnt lgkmcnt(0)
	s_nop 0
	v_mov_b32_dpp v45, v5 row_shr:1 row_mask:0xf bank_mask:0xf
	v_cndmask_b32_e64 v45, v45, 0, s[6:7]
	v_add_u32_e32 v5, v45, v5
	ds_write_b32 v22, v5 offset:3200
.LBB37_35:                              ;   in Loop: Header=BB37_3 Depth=1
	s_or_b64 exec, exec, s[28:29]
	v_mov_b32_e32 v45, 0
	s_waitcnt lgkmcnt(0)
	s_barrier
	s_and_saveexec_b64 s[28:29], s[2:3]
	s_cbranch_execz .LBB37_37
; %bb.36:                               ;   in Loop: Header=BB37_3 Depth=1
	ds_read_b32 v45, v21 offset:3196
.LBB37_37:                              ;   in Loop: Header=BB37_3 Depth=1
	s_or_b64 exec, exec, s[28:29]
	s_waitcnt lgkmcnt(0)
	v_add_u32_e32 v44, v45, v44
	ds_bpermute_b32 v44, v20, v44
	ds_read_b32 v46, v34 offset:3204
	v_and_b32_e32 v47, 0xffff, v42
	v_and_b32_e32 v48, 0xffff, v43
	;; [unrolled: 1-line block ×3, first 2 shown]
	s_waitcnt lgkmcnt(1)
	v_cndmask_b32_e64 v42, v44, v45, s[0:1]
	s_waitcnt lgkmcnt(0)
	v_lshl_add_u32 v42, v46, 16, v42
	v_add_u32_e32 v43, v42, v6
	v_add_u32_e32 v6, v43, v7
	;; [unrolled: 1-line block ×7, first 2 shown]
	ds_write2_b64 v19, v[42:43], v[6:7] offset1:1
	ds_write2_b64 v19, v[8:9], v[2:3] offset0:2 offset1:3
	s_waitcnt lgkmcnt(0)
	s_barrier
	ds_read_u16 v2, v38
	ds_read_u16 v3, v39
	ds_read_u16 v4, v40
	s_add_i32 s36, s36, 4
	v_mov_b32_e32 v5, v36
	s_cmp_ge_u32 s36, s37
	s_waitcnt lgkmcnt(2)
	v_add_lshl_u32 v7, v2, v41, 1
	s_waitcnt lgkmcnt(1)
	v_add_lshl_u32 v6, v3, v47, 1
	;; [unrolled: 2-line block ×3, first 2 shown]
	s_cbranch_scc0 .LBB37_2
; %bb.38:
                                        ; implicit-def: $vgpr8
                                        ; implicit-def: $vgpr36
                                        ; implicit-def: $vgpr9
                                        ; implicit-def: $vgpr3
.LBB37_39:
	s_barrier
	ds_write_b16 v7, v5
	ds_write_b16 v6, v37
	;; [unrolled: 1-line block ×3, first 2 shown]
	s_waitcnt lgkmcnt(0)
	s_barrier
	ds_read_b32 v1, v13
	ds_read_u16 v2, v13 offset:4
	v_add_u32_e32 v3, v7, v7
	s_waitcnt lgkmcnt(0)
	s_barrier
	ds_write_b32 v3, v32
	v_add_u32_e32 v3, v6, v6
	ds_write_b32 v3, v30
	v_add_u32_e32 v3, v4, v4
	s_mov_b64 s[24:25], 0
	ds_write_b32 v3, v28
	s_waitcnt lgkmcnt(0)
	s_barrier
	s_branch .LBB37_41
.LBB37_40:
	s_mov_b64 s[24:25], -1
                                        ; implicit-def: $vgpr2
                                        ; implicit-def: $vgpr1
.LBB37_41:
	v_add_co_u32_e32 v16, vcc, s30, v15
	v_addc_co_u32_e32 v17, vcc, 0, v17, vcc
	v_add_co_u32_e32 v14, vcc, s34, v26
	v_addc_co_u32_e32 v15, vcc, 0, v27, vcc
	s_and_b64 vcc, exec, s[24:25]
	s_cbranch_vccz .LBB37_179
; %bb.42:
	s_and_saveexec_b64 s[26:27], s[22:23]
	s_cbranch_execz .LBB37_70
; %bb.43:
	s_movk_i32 s24, 0x2bc
	v_mov_b32_e32 v1, 0x2bc
	v_cmp_gt_u32_e32 vcc, s24, v0
	v_subb_co_u32_e64 v1, s[24:25], v1, v0, vcc
	s_mov_b32 s24, 0x28f5c29
	v_mul_hi_u32 v2, v1, s24
	v_cndmask_b32_e64 v3, 0, 1, vcc
	v_addc_co_u32_e64 v1, s[24:25], 0, v2, vcc
	v_add_u16_e32 v2, v2, v3
	v_lshrrev_b16_e32 v2, 1, v2
	s_mov_b32 s33, 0
	v_mov_b32_e32 v7, 0
	v_add_u32_e32 v2, 1, v2
	v_cmp_lt_u32_e32 vcc, 5, v1
	s_and_saveexec_b64 s[28:29], vcc
	s_cbranch_execz .LBB37_63
; %bb.44:
	v_mov_b32_e32 v4, 0x320
	v_and_b32_e32 v3, 0xfffc, v2
	v_lshl_add_u32 v4, v0, 2, v4
	s_mov_b64 s[30:31], 0
	v_mov_b32_e32 v5, 0
	v_mov_b32_e32 v6, v22
	s_branch .LBB37_46
.LBB37_45:                              ;   in Loop: Header=BB37_46 Depth=1
	s_or_b64 exec, exec, s[24:25]
	v_add_u32_e32 v3, -4, v3
	s_add_i32 s24, s33, 8
	v_cmp_eq_u32_e32 vcc, 0, v3
	s_add_i32 s33, s36, 2
	v_add_u32_e32 v6, 0xc80, v6
	v_add_u32_e32 v4, 0xc80, v4
	s_or_b64 s[30:31], vcc, s[30:31]
	v_mov_b32_e32 v7, s24
	s_andn2_b64 exec, exec, s[30:31]
	s_cbranch_execz .LBB37_62
.LBB37_46:                              ; =>This Inner Loop Header: Depth=1
	s_or_b32 s24, s33, 1
	v_cmp_le_u32_e32 vcc, s24, v1
	v_cmp_le_u32_e64 s[24:25], s33, v1
	s_and_saveexec_b64 s[34:35], s[24:25]
	s_cbranch_execz .LBB37_48
; %bb.47:                               ;   in Loop: Header=BB37_46 Depth=1
	ds_write_b32 v6, v5
.LBB37_48:                              ;   in Loop: Header=BB37_46 Depth=1
	s_or_b64 exec, exec, s[34:35]
	s_and_saveexec_b64 s[24:25], vcc
	s_cbranch_execz .LBB37_50
; %bb.49:                               ;   in Loop: Header=BB37_46 Depth=1
	ds_write_b32 v6, v5 offset:400
.LBB37_50:                              ;   in Loop: Header=BB37_46 Depth=1
	s_or_b64 exec, exec, s[24:25]
	s_add_i32 s36, s33, 2
	s_add_i32 s24, s33, 3
	v_cmp_le_u32_e32 vcc, s24, v1
	v_cmp_le_u32_e64 s[24:25], s36, v1
	s_and_saveexec_b64 s[34:35], s[24:25]
	s_cbranch_execz .LBB37_52
; %bb.51:                               ;   in Loop: Header=BB37_46 Depth=1
	ds_write_b32 v4, v5
.LBB37_52:                              ;   in Loop: Header=BB37_46 Depth=1
	s_or_b64 exec, exec, s[34:35]
	s_and_saveexec_b64 s[24:25], vcc
	s_cbranch_execz .LBB37_54
; %bb.53:                               ;   in Loop: Header=BB37_46 Depth=1
	ds_write_b32 v4, v5 offset:400
.LBB37_54:                              ;   in Loop: Header=BB37_46 Depth=1
	s_or_b64 exec, exec, s[24:25]
	s_add_i32 s37, s36, 2
	s_add_i32 s36, s36, 3
	v_cmp_le_u32_e32 vcc, s36, v1
	v_cmp_le_u32_e64 s[24:25], s37, v1
	s_and_saveexec_b64 s[34:35], s[24:25]
	s_cbranch_execz .LBB37_56
; %bb.55:                               ;   in Loop: Header=BB37_46 Depth=1
	ds_write_b32 v4, v5 offset:800
.LBB37_56:                              ;   in Loop: Header=BB37_46 Depth=1
	s_or_b64 exec, exec, s[34:35]
	s_and_saveexec_b64 s[24:25], vcc
	s_cbranch_execz .LBB37_58
; %bb.57:                               ;   in Loop: Header=BB37_46 Depth=1
	ds_write_b32 v4, v5 offset:1200
.LBB37_58:                              ;   in Loop: Header=BB37_46 Depth=1
	s_or_b64 exec, exec, s[24:25]
	s_add_i32 s36, s37, 2
	s_add_i32 s37, s37, 3
	v_cmp_le_u32_e32 vcc, s37, v1
	v_cmp_le_u32_e64 s[24:25], s36, v1
	s_and_saveexec_b64 s[34:35], s[24:25]
	s_cbranch_execz .LBB37_60
; %bb.59:                               ;   in Loop: Header=BB37_46 Depth=1
	ds_write_b32 v4, v5 offset:1600
.LBB37_60:                              ;   in Loop: Header=BB37_46 Depth=1
	s_or_b64 exec, exec, s[34:35]
	s_and_saveexec_b64 s[24:25], vcc
	s_cbranch_execz .LBB37_45
; %bb.61:                               ;   in Loop: Header=BB37_46 Depth=1
	ds_write_b32 v4, v5 offset:2000
	s_branch .LBB37_45
.LBB37_62:
	s_or_b64 exec, exec, s[30:31]
.LBB37_63:
	s_or_b64 exec, exec, s[28:29]
	v_and_b32_e32 v3, 3, v2
	v_cmp_ne_u32_e32 vcc, 0, v3
	s_and_b64 exec, exec, vcc
	s_cbranch_execz .LBB37_70
; %bb.64:
	s_movk_i32 s24, 0x190
	v_mul_lo_u32 v2, v7, s24
	v_add3_u32 v2, v23, v2, v19
	v_mul_u32_u24_e32 v3, 0x190, v3
	s_mov_b64 s[28:29], 0
	v_mov_b32_e32 v4, 0
	s_branch .LBB37_66
.LBB37_65:                              ;   in Loop: Header=BB37_66 Depth=1
	s_or_b64 exec, exec, s[24:25]
	v_add_u32_e32 v3, 0xfffffe70, v3
	v_cmp_eq_u32_e32 vcc, 0, v3
	v_add_u32_e32 v7, 2, v7
	s_or_b64 s[28:29], vcc, s[28:29]
	v_add_u32_e32 v2, 0x320, v2
	s_andn2_b64 exec, exec, s[28:29]
	s_cbranch_execz .LBB37_70
.LBB37_66:                              ; =>This Inner Loop Header: Depth=1
	v_or_b32_e32 v5, 1, v7
	v_cmp_le_u32_e32 vcc, v5, v1
	v_cmp_le_u32_e64 s[24:25], v7, v1
	s_and_saveexec_b64 s[30:31], s[24:25]
	s_cbranch_execz .LBB37_68
; %bb.67:                               ;   in Loop: Header=BB37_66 Depth=1
	ds_write_b32 v2, v4
.LBB37_68:                              ;   in Loop: Header=BB37_66 Depth=1
	s_or_b64 exec, exec, s[30:31]
	s_and_saveexec_b64 s[24:25], vcc
	s_cbranch_execz .LBB37_65
; %bb.69:                               ;   in Loop: Header=BB37_66 Depth=1
	ds_write_b32 v2, v4 offset:400
	s_branch .LBB37_65
.LBB37_70:
	s_or_b64 exec, exec, s[26:27]
	s_waitcnt vmcnt(2)
	v_and_b32_e32 v1, 7, v25
	s_movk_i32 s24, 0x64
	v_lshrrev_b32_e32 v2, 2, v25
	v_mad_u32_u24 v1, v1, s24, v0
	v_and_b32_e32 v2, 2, v2
	v_lshl_or_b32 v1, v1, 2, v2
	ds_read_u16 v28, v1
	v_bfe_u32 v2, v25, 16, 3
	v_mad_u32_u24 v2, v2, s24, v0
	s_waitcnt lgkmcnt(0)
	v_add_u16_e32 v3, 1, v28
	ds_write_b16 v1, v3
	v_lshrrev_b32_e32 v3, 18, v25
	v_and_b32_e32 v3, 2, v3
	v_lshl_or_b32 v26, v2, 2, v3
	ds_read_u16 v29, v26
	v_mov_b32_e32 v3, 2
	s_waitcnt vmcnt(1)
	v_lshrrev_b32_sdwa v3, v3, v24 dst_sel:DWORD dst_unused:UNUSED_PAD src0_sel:DWORD src1_sel:WORD_0
	v_and_b32_e32 v3, 2, v3
	s_waitcnt lgkmcnt(0)
	v_add_u16_e32 v2, 1, v29
	ds_write_b16 v26, v2
	v_mov_b32_e32 v2, 7
	v_and_b32_sdwa v2, v24, v2 dst_sel:DWORD dst_unused:UNUSED_PAD src0_sel:WORD_0 src1_sel:DWORD
	v_mad_u32_u24 v2, v2, s24, v0
	v_lshl_or_b32 v27, v2, 2, v3
	ds_read_u16 v30, v27
	s_waitcnt lgkmcnt(0)
	v_add_u16_e32 v2, 1, v30
	ds_write_b16 v27, v2
	s_waitcnt lgkmcnt(0)
	s_barrier
	ds_read2_b64 v[6:9], v19 offset1:1
	ds_read2_b64 v[2:5], v19 offset0:2 offset1:3
	s_waitcnt lgkmcnt(1)
	v_add_u32_e32 v31, v7, v6
	v_add3_u32 v31, v31, v8, v9
	s_waitcnt lgkmcnt(0)
	v_add3_u32 v31, v31, v2, v3
	v_add3_u32 v5, v31, v4, v5
	s_nop 1
	v_mov_b32_dpp v31, v5 row_shr:1 row_mask:0xf bank_mask:0xf
	v_cndmask_b32_e64 v31, v31, 0, s[20:21]
	v_add_u32_e32 v5, v31, v5
	s_nop 1
	v_mov_b32_dpp v31, v5 row_shr:2 row_mask:0xf bank_mask:0xf
	v_cndmask_b32_e64 v31, 0, v31, s[18:19]
	v_add_u32_e32 v5, v5, v31
	;; [unrolled: 4-line block ×4, first 2 shown]
	s_nop 1
	v_mov_b32_dpp v31, v5 row_bcast:15 row_mask:0xf bank_mask:0xf
	v_cndmask_b32_e64 v31, v31, 0, s[12:13]
	v_add_u32_e32 v5, v5, v31
	s_nop 1
	v_mov_b32_dpp v31, v5 row_bcast:31 row_mask:0xf bank_mask:0xf
	v_cndmask_b32_e64 v31, 0, v31, s[8:9]
	v_add_u32_e32 v31, v5, v31
	s_and_saveexec_b64 s[24:25], s[10:11]
	s_cbranch_execz .LBB37_72
; %bb.71:
	ds_write_b32 v21, v31 offset:3200
.LBB37_72:
	s_or_b64 exec, exec, s[24:25]
	s_waitcnt lgkmcnt(0)
	s_barrier
	s_and_saveexec_b64 s[24:25], s[4:5]
	s_cbranch_execz .LBB37_74
; %bb.73:
	ds_read_b32 v5, v22 offset:3200
	s_waitcnt lgkmcnt(0)
	s_nop 0
	v_mov_b32_dpp v32, v5 row_shr:1 row_mask:0xf bank_mask:0xf
	v_cndmask_b32_e64 v32, v32, 0, s[6:7]
	v_add_u32_e32 v5, v32, v5
	ds_write_b32 v22, v5 offset:3200
.LBB37_74:
	s_or_b64 exec, exec, s[24:25]
	v_lshrrev_b32_e32 v5, 16, v25
	v_mov_b32_e32 v33, 0
	v_mov_b32_e32 v32, 0
	s_waitcnt lgkmcnt(0)
	s_barrier
	s_and_saveexec_b64 s[24:25], s[2:3]
	s_cbranch_execz .LBB37_76
; %bb.75:
	ds_read_b32 v32, v21 offset:3196
.LBB37_76:
	s_or_b64 exec, exec, s[24:25]
	s_waitcnt lgkmcnt(0)
	v_add_u32_e32 v31, v32, v31
	ds_bpermute_b32 v31, v20, v31
	ds_read_b32 v33, v33 offset:3204
	v_and_b32_e32 v34, 0xffff, v28
	v_and_b32_e32 v35, 0xffff, v29
	;; [unrolled: 1-line block ×3, first 2 shown]
	s_waitcnt lgkmcnt(1)
	v_cndmask_b32_e64 v28, v31, v32, s[0:1]
	s_waitcnt lgkmcnt(0)
	v_lshl_add_u32 v28, v33, 16, v28
	v_add_u32_e32 v29, v28, v6
	v_add_u32_e32 v6, v29, v7
	;; [unrolled: 1-line block ×7, first 2 shown]
	ds_write2_b64 v19, v[28:29], v[6:7] offset1:1
	ds_write2_b64 v19, v[8:9], v[2:3] offset0:2 offset1:3
	s_waitcnt lgkmcnt(0)
	s_barrier
	ds_read_u16 v1, v1
	ds_read_u16 v2, v26
	;; [unrolled: 1-line block ×3, first 2 shown]
	s_waitcnt lgkmcnt(0)
	s_barrier
	v_add_lshl_u32 v1, v1, v34, 1
	ds_write_b16 v1, v25
	v_add_lshl_u32 v2, v2, v35, 1
	v_add_lshl_u32 v3, v3, v30, 1
	v_add_u32_e32 v1, v1, v1
	ds_write_b16 v2, v5
	ds_write_b16 v3, v24
	s_waitcnt lgkmcnt(0)
	s_barrier
	ds_read_u16 v26, v13
	ds_read_u16 v25, v13 offset:2
	ds_read_u16 v24, v13 offset:4
	s_waitcnt lgkmcnt(0)
	s_barrier
	s_waitcnt vmcnt(0)
	ds_write_b32 v1, v10
	v_add_u32_e32 v1, v2, v2
	ds_write_b32 v1, v11
	v_add_u32_e32 v1, v3, v3
	;; [unrolled: 2-line block ×3, first 2 shown]
	s_waitcnt lgkmcnt(0)
	s_barrier
	ds_read2_b32 v[10:11], v1 offset1:1
	ds_read_b32 v12, v1 offset:8
	s_waitcnt lgkmcnt(0)
	s_barrier
	s_and_saveexec_b64 s[26:27], s[22:23]
	s_cbranch_execz .LBB37_104
; %bb.77:
	s_movk_i32 s24, 0x2bc
	v_mov_b32_e32 v2, 0x2bc
	v_cmp_gt_u32_e32 vcc, s24, v0
	v_subb_co_u32_e64 v2, s[24:25], v2, v0, vcc
	s_mov_b32 s24, 0x28f5c29
	v_mul_hi_u32 v3, v2, s24
	v_cndmask_b32_e64 v4, 0, 1, vcc
	v_addc_co_u32_e64 v2, s[24:25], 0, v3, vcc
	v_add_u16_e32 v3, v3, v4
	v_lshrrev_b16_e32 v3, 1, v3
	s_mov_b32 s33, 0
	v_mov_b32_e32 v8, 0
	v_add_u32_e32 v3, 1, v3
	v_cmp_lt_u32_e32 vcc, 5, v2
	s_and_saveexec_b64 s[28:29], vcc
	s_cbranch_execz .LBB37_97
; %bb.78:
	v_mov_b32_e32 v5, 0x320
	v_and_b32_e32 v4, 0xfffc, v3
	v_lshl_add_u32 v5, v0, 2, v5
	s_mov_b64 s[30:31], 0
	v_mov_b32_e32 v6, 0
	v_mov_b32_e32 v7, v22
	s_branch .LBB37_80
.LBB37_79:                              ;   in Loop: Header=BB37_80 Depth=1
	s_or_b64 exec, exec, s[24:25]
	v_add_u32_e32 v4, -4, v4
	s_add_i32 s24, s33, 8
	v_cmp_eq_u32_e32 vcc, 0, v4
	s_add_i32 s33, s36, 2
	v_add_u32_e32 v7, 0xc80, v7
	v_add_u32_e32 v5, 0xc80, v5
	s_or_b64 s[30:31], vcc, s[30:31]
	v_mov_b32_e32 v8, s24
	s_andn2_b64 exec, exec, s[30:31]
	s_cbranch_execz .LBB37_96
.LBB37_80:                              ; =>This Inner Loop Header: Depth=1
	s_or_b32 s24, s33, 1
	v_cmp_le_u32_e32 vcc, s24, v2
	v_cmp_le_u32_e64 s[24:25], s33, v2
	s_and_saveexec_b64 s[34:35], s[24:25]
	s_cbranch_execz .LBB37_82
; %bb.81:                               ;   in Loop: Header=BB37_80 Depth=1
	ds_write_b32 v7, v6
.LBB37_82:                              ;   in Loop: Header=BB37_80 Depth=1
	s_or_b64 exec, exec, s[34:35]
	s_and_saveexec_b64 s[24:25], vcc
	s_cbranch_execz .LBB37_84
; %bb.83:                               ;   in Loop: Header=BB37_80 Depth=1
	ds_write_b32 v7, v6 offset:400
.LBB37_84:                              ;   in Loop: Header=BB37_80 Depth=1
	s_or_b64 exec, exec, s[24:25]
	s_add_i32 s36, s33, 2
	s_add_i32 s24, s33, 3
	v_cmp_le_u32_e32 vcc, s24, v2
	v_cmp_le_u32_e64 s[24:25], s36, v2
	s_and_saveexec_b64 s[34:35], s[24:25]
	s_cbranch_execz .LBB37_86
; %bb.85:                               ;   in Loop: Header=BB37_80 Depth=1
	ds_write_b32 v5, v6
.LBB37_86:                              ;   in Loop: Header=BB37_80 Depth=1
	s_or_b64 exec, exec, s[34:35]
	s_and_saveexec_b64 s[24:25], vcc
	s_cbranch_execz .LBB37_88
; %bb.87:                               ;   in Loop: Header=BB37_80 Depth=1
	ds_write_b32 v5, v6 offset:400
.LBB37_88:                              ;   in Loop: Header=BB37_80 Depth=1
	s_or_b64 exec, exec, s[24:25]
	s_add_i32 s37, s36, 2
	s_add_i32 s36, s36, 3
	v_cmp_le_u32_e32 vcc, s36, v2
	v_cmp_le_u32_e64 s[24:25], s37, v2
	s_and_saveexec_b64 s[34:35], s[24:25]
	s_cbranch_execz .LBB37_90
; %bb.89:                               ;   in Loop: Header=BB37_80 Depth=1
	ds_write_b32 v5, v6 offset:800
.LBB37_90:                              ;   in Loop: Header=BB37_80 Depth=1
	s_or_b64 exec, exec, s[34:35]
	s_and_saveexec_b64 s[24:25], vcc
	s_cbranch_execz .LBB37_92
; %bb.91:                               ;   in Loop: Header=BB37_80 Depth=1
	ds_write_b32 v5, v6 offset:1200
.LBB37_92:                              ;   in Loop: Header=BB37_80 Depth=1
	s_or_b64 exec, exec, s[24:25]
	s_add_i32 s36, s37, 2
	s_add_i32 s37, s37, 3
	v_cmp_le_u32_e32 vcc, s37, v2
	v_cmp_le_u32_e64 s[24:25], s36, v2
	s_and_saveexec_b64 s[34:35], s[24:25]
	s_cbranch_execz .LBB37_94
; %bb.93:                               ;   in Loop: Header=BB37_80 Depth=1
	ds_write_b32 v5, v6 offset:1600
.LBB37_94:                              ;   in Loop: Header=BB37_80 Depth=1
	s_or_b64 exec, exec, s[34:35]
	s_and_saveexec_b64 s[24:25], vcc
	s_cbranch_execz .LBB37_79
; %bb.95:                               ;   in Loop: Header=BB37_80 Depth=1
	ds_write_b32 v5, v6 offset:2000
	s_branch .LBB37_79
.LBB37_96:
	s_or_b64 exec, exec, s[30:31]
.LBB37_97:
	s_or_b64 exec, exec, s[28:29]
	v_and_b32_e32 v4, 3, v3
	v_cmp_ne_u32_e32 vcc, 0, v4
	s_and_b64 exec, exec, vcc
	s_cbranch_execz .LBB37_104
; %bb.98:
	s_movk_i32 s24, 0x190
	v_mul_lo_u32 v3, v8, s24
	v_add3_u32 v3, v23, v3, v19
	v_mul_u32_u24_e32 v4, 0x190, v4
	s_mov_b64 s[28:29], 0
	v_mov_b32_e32 v5, 0
	s_branch .LBB37_100
.LBB37_99:                              ;   in Loop: Header=BB37_100 Depth=1
	s_or_b64 exec, exec, s[24:25]
	v_add_u32_e32 v4, 0xfffffe70, v4
	v_cmp_eq_u32_e32 vcc, 0, v4
	v_add_u32_e32 v8, 2, v8
	s_or_b64 s[28:29], vcc, s[28:29]
	v_add_u32_e32 v3, 0x320, v3
	s_andn2_b64 exec, exec, s[28:29]
	s_cbranch_execz .LBB37_104
.LBB37_100:                             ; =>This Inner Loop Header: Depth=1
	v_or_b32_e32 v6, 1, v8
	v_cmp_le_u32_e32 vcc, v6, v2
	v_cmp_le_u32_e64 s[24:25], v8, v2
	s_and_saveexec_b64 s[30:31], s[24:25]
	s_cbranch_execz .LBB37_102
; %bb.101:                              ;   in Loop: Header=BB37_100 Depth=1
	ds_write_b32 v3, v5
.LBB37_102:                             ;   in Loop: Header=BB37_100 Depth=1
	s_or_b64 exec, exec, s[30:31]
	s_and_saveexec_b64 s[24:25], vcc
	s_cbranch_execz .LBB37_99
; %bb.103:                              ;   in Loop: Header=BB37_100 Depth=1
	ds_write_b32 v3, v5 offset:400
	s_branch .LBB37_99
.LBB37_104:
	s_or_b64 exec, exec, s[26:27]
	v_lshrrev_b16_e32 v2, 4, v26
	v_and_b32_e32 v3, 7, v2
	s_movk_i32 s24, 0x64
	v_lshrrev_b32_e32 v2, 2, v2
	v_mad_u32_u24 v3, v3, s24, v0
	v_and_b32_e32 v2, 2, v2
	v_lshl_or_b32 v27, v3, 2, v2
	ds_read_u16 v30, v27
	v_lshrrev_b16_e32 v2, 4, v25
	s_waitcnt lgkmcnt(0)
	v_add_u16_e32 v3, 1, v30
	ds_write_b16 v27, v3
	v_and_b32_e32 v3, 7, v2
	v_lshrrev_b32_e32 v2, 2, v2
	v_mad_u32_u24 v3, v3, s24, v0
	v_and_b32_e32 v2, 2, v2
	v_lshl_or_b32 v28, v3, 2, v2
	ds_read_u16 v31, v28
	s_waitcnt lgkmcnt(0)
	v_add_u16_e32 v2, 1, v31
	ds_write_b16 v28, v2
	v_lshrrev_b16_e32 v2, 4, v24
	v_and_b32_e32 v3, 7, v2
	v_lshrrev_b32_e32 v2, 2, v2
	v_mad_u32_u24 v3, v3, s24, v0
	v_and_b32_e32 v2, 2, v2
	v_lshl_or_b32 v29, v3, 2, v2
	ds_read_u16 v32, v29
	s_waitcnt lgkmcnt(0)
	v_add_u16_e32 v2, 1, v32
	ds_write_b16 v29, v2
	s_waitcnt lgkmcnt(0)
	s_barrier
	ds_read2_b64 v[6:9], v19 offset1:1
	ds_read2_b64 v[2:5], v19 offset0:2 offset1:3
	s_waitcnt lgkmcnt(1)
	v_add_u32_e32 v33, v7, v6
	v_add3_u32 v33, v33, v8, v9
	s_waitcnt lgkmcnt(0)
	v_add3_u32 v33, v33, v2, v3
	v_add3_u32 v5, v33, v4, v5
	s_nop 1
	v_mov_b32_dpp v33, v5 row_shr:1 row_mask:0xf bank_mask:0xf
	v_cndmask_b32_e64 v33, v33, 0, s[20:21]
	v_add_u32_e32 v5, v33, v5
	s_nop 1
	v_mov_b32_dpp v33, v5 row_shr:2 row_mask:0xf bank_mask:0xf
	v_cndmask_b32_e64 v33, 0, v33, s[18:19]
	v_add_u32_e32 v5, v5, v33
	;; [unrolled: 4-line block ×4, first 2 shown]
	s_nop 1
	v_mov_b32_dpp v33, v5 row_bcast:15 row_mask:0xf bank_mask:0xf
	v_cndmask_b32_e64 v33, v33, 0, s[12:13]
	v_add_u32_e32 v5, v5, v33
	s_nop 1
	v_mov_b32_dpp v33, v5 row_bcast:31 row_mask:0xf bank_mask:0xf
	v_cndmask_b32_e64 v33, 0, v33, s[8:9]
	v_add_u32_e32 v5, v5, v33
	s_and_saveexec_b64 s[24:25], s[10:11]
	s_cbranch_execz .LBB37_106
; %bb.105:
	ds_write_b32 v21, v5 offset:3200
.LBB37_106:
	s_or_b64 exec, exec, s[24:25]
	s_waitcnt lgkmcnt(0)
	s_barrier
	s_and_saveexec_b64 s[24:25], s[4:5]
	s_cbranch_execz .LBB37_108
; %bb.107:
	ds_read_b32 v33, v22 offset:3200
	s_waitcnt lgkmcnt(0)
	s_nop 0
	v_mov_b32_dpp v34, v33 row_shr:1 row_mask:0xf bank_mask:0xf
	v_cndmask_b32_e64 v34, v34, 0, s[6:7]
	v_add_u32_e32 v33, v34, v33
	ds_write_b32 v22, v33 offset:3200
.LBB37_108:
	s_or_b64 exec, exec, s[24:25]
	v_mov_b32_e32 v34, 0
	v_mov_b32_e32 v33, 0
	s_waitcnt lgkmcnt(0)
	s_barrier
	s_and_saveexec_b64 s[24:25], s[2:3]
	s_cbranch_execz .LBB37_110
; %bb.109:
	ds_read_b32 v33, v21 offset:3196
.LBB37_110:
	s_or_b64 exec, exec, s[24:25]
	s_waitcnt lgkmcnt(0)
	v_add_u32_e32 v5, v33, v5
	ds_bpermute_b32 v5, v20, v5
	ds_read_b32 v34, v34 offset:3204
	v_and_b32_e32 v35, 0xffff, v30
	v_and_b32_e32 v36, 0xffff, v31
	;; [unrolled: 1-line block ×3, first 2 shown]
	s_waitcnt lgkmcnt(1)
	v_cndmask_b32_e64 v5, v5, v33, s[0:1]
	s_waitcnt lgkmcnt(0)
	v_lshl_add_u32 v30, v34, 16, v5
	v_add_u32_e32 v31, v30, v6
	v_add_u32_e32 v6, v31, v7
	;; [unrolled: 1-line block ×7, first 2 shown]
	ds_write2_b64 v19, v[30:31], v[6:7] offset1:1
	ds_write2_b64 v19, v[8:9], v[2:3] offset0:2 offset1:3
	s_waitcnt lgkmcnt(0)
	s_barrier
	ds_read_u16 v2, v27
	ds_read_u16 v3, v28
	;; [unrolled: 1-line block ×3, first 2 shown]
	s_waitcnt lgkmcnt(0)
	s_barrier
	v_add_lshl_u32 v2, v2, v35, 1
	ds_write_b16 v2, v26
	v_add_lshl_u32 v3, v3, v36, 1
	v_add_lshl_u32 v4, v4, v32, 1
	v_add_u32_e32 v2, v2, v2
	ds_write_b16 v3, v25
	ds_write_b16 v4, v24
	s_waitcnt lgkmcnt(0)
	s_barrier
	ds_read_u16 v27, v13
	ds_read_u16 v25, v13 offset:2
	ds_read_u16 v24, v13 offset:4
	s_waitcnt lgkmcnt(0)
	s_barrier
	ds_write_b32 v2, v10
	v_add_u32_e32 v2, v3, v3
	ds_write_b32 v2, v11
	v_add_u32_e32 v2, v4, v4
	ds_write_b32 v2, v12
	s_waitcnt lgkmcnt(0)
	s_barrier
	ds_read2_b32 v[10:11], v1 offset1:1
	ds_read_b32 v26, v1 offset:8
	s_waitcnt lgkmcnt(0)
	s_barrier
	s_and_saveexec_b64 s[26:27], s[22:23]
	s_cbranch_execz .LBB37_138
; %bb.111:
	s_movk_i32 s24, 0x2bc
	v_mov_b32_e32 v2, 0x2bc
	v_cmp_gt_u32_e32 vcc, s24, v0
	v_subb_co_u32_e64 v2, s[24:25], v2, v0, vcc
	s_mov_b32 s24, 0x28f5c29
	v_mul_hi_u32 v3, v2, s24
	v_cndmask_b32_e64 v4, 0, 1, vcc
	v_addc_co_u32_e64 v2, s[24:25], 0, v3, vcc
	v_add_u16_e32 v3, v3, v4
	v_lshrrev_b16_e32 v3, 1, v3
	s_mov_b32 s33, 0
	v_mov_b32_e32 v8, 0
	v_add_u32_e32 v3, 1, v3
	v_cmp_lt_u32_e32 vcc, 5, v2
	s_and_saveexec_b64 s[28:29], vcc
	s_cbranch_execz .LBB37_131
; %bb.112:
	v_mov_b32_e32 v5, 0x320
	v_and_b32_e32 v4, 0xfffc, v3
	v_lshl_add_u32 v5, v0, 2, v5
	s_mov_b64 s[30:31], 0
	v_mov_b32_e32 v6, 0
	v_mov_b32_e32 v7, v22
	s_branch .LBB37_114
.LBB37_113:                             ;   in Loop: Header=BB37_114 Depth=1
	s_or_b64 exec, exec, s[24:25]
	v_add_u32_e32 v4, -4, v4
	s_add_i32 s24, s33, 8
	v_cmp_eq_u32_e32 vcc, 0, v4
	s_add_i32 s33, s36, 2
	v_add_u32_e32 v7, 0xc80, v7
	v_add_u32_e32 v5, 0xc80, v5
	s_or_b64 s[30:31], vcc, s[30:31]
	v_mov_b32_e32 v8, s24
	s_andn2_b64 exec, exec, s[30:31]
	s_cbranch_execz .LBB37_130
.LBB37_114:                             ; =>This Inner Loop Header: Depth=1
	s_or_b32 s24, s33, 1
	v_cmp_le_u32_e32 vcc, s24, v2
	v_cmp_le_u32_e64 s[24:25], s33, v2
	s_and_saveexec_b64 s[34:35], s[24:25]
	s_cbranch_execz .LBB37_116
; %bb.115:                              ;   in Loop: Header=BB37_114 Depth=1
	ds_write_b32 v7, v6
.LBB37_116:                             ;   in Loop: Header=BB37_114 Depth=1
	s_or_b64 exec, exec, s[34:35]
	s_and_saveexec_b64 s[24:25], vcc
	s_cbranch_execz .LBB37_118
; %bb.117:                              ;   in Loop: Header=BB37_114 Depth=1
	ds_write_b32 v7, v6 offset:400
.LBB37_118:                             ;   in Loop: Header=BB37_114 Depth=1
	s_or_b64 exec, exec, s[24:25]
	s_add_i32 s36, s33, 2
	s_add_i32 s24, s33, 3
	v_cmp_le_u32_e32 vcc, s24, v2
	v_cmp_le_u32_e64 s[24:25], s36, v2
	s_and_saveexec_b64 s[34:35], s[24:25]
	s_cbranch_execz .LBB37_120
; %bb.119:                              ;   in Loop: Header=BB37_114 Depth=1
	ds_write_b32 v5, v6
.LBB37_120:                             ;   in Loop: Header=BB37_114 Depth=1
	s_or_b64 exec, exec, s[34:35]
	s_and_saveexec_b64 s[24:25], vcc
	s_cbranch_execz .LBB37_122
; %bb.121:                              ;   in Loop: Header=BB37_114 Depth=1
	ds_write_b32 v5, v6 offset:400
.LBB37_122:                             ;   in Loop: Header=BB37_114 Depth=1
	s_or_b64 exec, exec, s[24:25]
	s_add_i32 s37, s36, 2
	s_add_i32 s36, s36, 3
	v_cmp_le_u32_e32 vcc, s36, v2
	v_cmp_le_u32_e64 s[24:25], s37, v2
	s_and_saveexec_b64 s[34:35], s[24:25]
	s_cbranch_execz .LBB37_124
; %bb.123:                              ;   in Loop: Header=BB37_114 Depth=1
	ds_write_b32 v5, v6 offset:800
.LBB37_124:                             ;   in Loop: Header=BB37_114 Depth=1
	s_or_b64 exec, exec, s[34:35]
	s_and_saveexec_b64 s[24:25], vcc
	s_cbranch_execz .LBB37_126
; %bb.125:                              ;   in Loop: Header=BB37_114 Depth=1
	ds_write_b32 v5, v6 offset:1200
.LBB37_126:                             ;   in Loop: Header=BB37_114 Depth=1
	s_or_b64 exec, exec, s[24:25]
	s_add_i32 s36, s37, 2
	s_add_i32 s37, s37, 3
	v_cmp_le_u32_e32 vcc, s37, v2
	v_cmp_le_u32_e64 s[24:25], s36, v2
	s_and_saveexec_b64 s[34:35], s[24:25]
	s_cbranch_execz .LBB37_128
; %bb.127:                              ;   in Loop: Header=BB37_114 Depth=1
	ds_write_b32 v5, v6 offset:1600
.LBB37_128:                             ;   in Loop: Header=BB37_114 Depth=1
	s_or_b64 exec, exec, s[34:35]
	s_and_saveexec_b64 s[24:25], vcc
	s_cbranch_execz .LBB37_113
; %bb.129:                              ;   in Loop: Header=BB37_114 Depth=1
	ds_write_b32 v5, v6 offset:2000
	s_branch .LBB37_113
.LBB37_130:
	s_or_b64 exec, exec, s[30:31]
.LBB37_131:
	s_or_b64 exec, exec, s[28:29]
	v_and_b32_e32 v4, 3, v3
	v_cmp_ne_u32_e32 vcc, 0, v4
	s_and_b64 exec, exec, vcc
	s_cbranch_execz .LBB37_138
; %bb.132:
	s_movk_i32 s24, 0x190
	v_mul_lo_u32 v3, v8, s24
	v_add3_u32 v3, v23, v3, v19
	v_mul_u32_u24_e32 v4, 0x190, v4
	s_mov_b64 s[28:29], 0
	v_mov_b32_e32 v5, 0
	s_branch .LBB37_134
.LBB37_133:                             ;   in Loop: Header=BB37_134 Depth=1
	s_or_b64 exec, exec, s[24:25]
	v_add_u32_e32 v4, 0xfffffe70, v4
	v_cmp_eq_u32_e32 vcc, 0, v4
	v_add_u32_e32 v8, 2, v8
	s_or_b64 s[28:29], vcc, s[28:29]
	v_add_u32_e32 v3, 0x320, v3
	s_andn2_b64 exec, exec, s[28:29]
	s_cbranch_execz .LBB37_138
.LBB37_134:                             ; =>This Inner Loop Header: Depth=1
	v_or_b32_e32 v6, 1, v8
	v_cmp_le_u32_e32 vcc, v6, v2
	v_cmp_le_u32_e64 s[24:25], v8, v2
	s_and_saveexec_b64 s[30:31], s[24:25]
	s_cbranch_execz .LBB37_136
; %bb.135:                              ;   in Loop: Header=BB37_134 Depth=1
	ds_write_b32 v3, v5
.LBB37_136:                             ;   in Loop: Header=BB37_134 Depth=1
	s_or_b64 exec, exec, s[30:31]
	s_and_saveexec_b64 s[24:25], vcc
	s_cbranch_execz .LBB37_133
; %bb.137:                              ;   in Loop: Header=BB37_134 Depth=1
	ds_write_b32 v3, v5 offset:400
	s_branch .LBB37_133
.LBB37_138:
	s_or_b64 exec, exec, s[26:27]
	v_mov_b32_e32 v2, 7
	v_mov_b32_e32 v4, 2
	v_and_b32_sdwa v3, v27, v2 dst_sel:DWORD dst_unused:UNUSED_PAD src0_sel:BYTE_1 src1_sel:DWORD
	s_movk_i32 s24, 0x64
	v_lshrrev_b32_sdwa v5, v4, v27 dst_sel:DWORD dst_unused:UNUSED_PAD src0_sel:DWORD src1_sel:BYTE_1
	v_mad_u32_u24 v3, v3, s24, v0
	v_and_b32_e32 v5, 2, v5
	v_lshl_or_b32 v12, v3, 2, v5
	ds_read_u16 v30, v12
	v_lshrrev_b32_sdwa v5, v4, v25 dst_sel:DWORD dst_unused:UNUSED_PAD src0_sel:DWORD src1_sel:BYTE_1
	v_and_b32_e32 v5, 2, v5
	s_waitcnt lgkmcnt(0)
	v_add_u16_e32 v3, 1, v30
	ds_write_b16 v12, v3
	v_and_b32_sdwa v3, v25, v2 dst_sel:DWORD dst_unused:UNUSED_PAD src0_sel:BYTE_1 src1_sel:DWORD
	v_mad_u32_u24 v3, v3, s24, v0
	v_lshl_or_b32 v28, v3, 2, v5
	ds_read_u16 v31, v28
	v_and_b32_sdwa v2, v24, v2 dst_sel:DWORD dst_unused:UNUSED_PAD src0_sel:BYTE_1 src1_sel:DWORD
	v_mad_u32_u24 v2, v2, s24, v0
	s_waitcnt lgkmcnt(0)
	v_add_u16_e32 v3, 1, v31
	ds_write_b16 v28, v3
	v_lshrrev_b32_sdwa v3, v4, v24 dst_sel:DWORD dst_unused:UNUSED_PAD src0_sel:DWORD src1_sel:BYTE_1
	v_and_b32_e32 v3, 2, v3
	v_lshl_or_b32 v29, v2, 2, v3
	ds_read_u16 v32, v29
	s_waitcnt lgkmcnt(0)
	v_add_u16_e32 v2, 1, v32
	ds_write_b16 v29, v2
	s_waitcnt lgkmcnt(0)
	s_barrier
	ds_read2_b64 v[6:9], v19 offset1:1
	ds_read2_b64 v[2:5], v19 offset0:2 offset1:3
	s_waitcnt lgkmcnt(1)
	v_add_u32_e32 v33, v7, v6
	v_add3_u32 v33, v33, v8, v9
	s_waitcnt lgkmcnt(0)
	v_add3_u32 v33, v33, v2, v3
	v_add3_u32 v5, v33, v4, v5
	s_nop 1
	v_mov_b32_dpp v33, v5 row_shr:1 row_mask:0xf bank_mask:0xf
	v_cndmask_b32_e64 v33, v33, 0, s[20:21]
	v_add_u32_e32 v5, v33, v5
	s_nop 1
	v_mov_b32_dpp v33, v5 row_shr:2 row_mask:0xf bank_mask:0xf
	v_cndmask_b32_e64 v33, 0, v33, s[18:19]
	v_add_u32_e32 v5, v5, v33
	;; [unrolled: 4-line block ×4, first 2 shown]
	s_nop 1
	v_mov_b32_dpp v33, v5 row_bcast:15 row_mask:0xf bank_mask:0xf
	v_cndmask_b32_e64 v33, v33, 0, s[12:13]
	v_add_u32_e32 v5, v5, v33
	s_nop 1
	v_mov_b32_dpp v33, v5 row_bcast:31 row_mask:0xf bank_mask:0xf
	v_cndmask_b32_e64 v33, 0, v33, s[8:9]
	v_add_u32_e32 v5, v5, v33
	s_and_saveexec_b64 s[24:25], s[10:11]
	s_cbranch_execz .LBB37_140
; %bb.139:
	ds_write_b32 v21, v5 offset:3200
.LBB37_140:
	s_or_b64 exec, exec, s[24:25]
	s_waitcnt lgkmcnt(0)
	s_barrier
	s_and_saveexec_b64 s[24:25], s[4:5]
	s_cbranch_execz .LBB37_142
; %bb.141:
	ds_read_b32 v33, v22 offset:3200
	s_waitcnt lgkmcnt(0)
	s_nop 0
	v_mov_b32_dpp v34, v33 row_shr:1 row_mask:0xf bank_mask:0xf
	v_cndmask_b32_e64 v34, v34, 0, s[6:7]
	v_add_u32_e32 v33, v34, v33
	ds_write_b32 v22, v33 offset:3200
.LBB37_142:
	s_or_b64 exec, exec, s[24:25]
	v_mov_b32_e32 v34, 0
	v_mov_b32_e32 v33, 0
	s_waitcnt lgkmcnt(0)
	s_barrier
	s_and_saveexec_b64 s[24:25], s[2:3]
	s_cbranch_execz .LBB37_144
; %bb.143:
	ds_read_b32 v33, v21 offset:3196
.LBB37_144:
	s_or_b64 exec, exec, s[24:25]
	s_waitcnt lgkmcnt(0)
	v_add_u32_e32 v5, v33, v5
	ds_bpermute_b32 v5, v20, v5
	ds_read_b32 v34, v34 offset:3204
	v_and_b32_e32 v35, 0xffff, v30
	v_and_b32_e32 v36, 0xffff, v31
	;; [unrolled: 1-line block ×3, first 2 shown]
	s_waitcnt lgkmcnt(1)
	v_cndmask_b32_e64 v5, v5, v33, s[0:1]
	s_waitcnt lgkmcnt(0)
	v_lshl_add_u32 v30, v34, 16, v5
	v_add_u32_e32 v31, v30, v6
	v_add_u32_e32 v6, v31, v7
	v_add_u32_e32 v7, v6, v8
	v_add_u32_e32 v8, v7, v9
	v_add_u32_e32 v9, v8, v2
	v_add_u32_e32 v2, v9, v3
	v_add_u32_e32 v3, v2, v4
	ds_write2_b64 v19, v[30:31], v[6:7] offset1:1
	ds_write2_b64 v19, v[8:9], v[2:3] offset0:2 offset1:3
	s_waitcnt lgkmcnt(0)
	s_barrier
	ds_read_u16 v2, v12
	ds_read_u16 v3, v28
	;; [unrolled: 1-line block ×3, first 2 shown]
	s_waitcnt lgkmcnt(0)
	s_barrier
	v_add_lshl_u32 v2, v2, v35, 1
	ds_write_b16 v2, v27
	v_add_lshl_u32 v3, v3, v36, 1
	v_add_lshl_u32 v4, v4, v32, 1
	v_add_u32_e32 v2, v2, v2
	ds_write_b16 v3, v25
	ds_write_b16 v4, v24
	s_waitcnt lgkmcnt(0)
	s_barrier
	ds_read_u16 v25, v13
	ds_read_u16 v24, v13 offset:2
	ds_read_u16 v12, v13 offset:4
	s_waitcnt lgkmcnt(0)
	s_barrier
	ds_write_b32 v2, v10
	v_add_u32_e32 v2, v3, v3
	ds_write_b32 v2, v11
	v_add_u32_e32 v2, v4, v4
	ds_write_b32 v2, v26
	s_waitcnt lgkmcnt(0)
	s_barrier
	ds_read2_b32 v[8:9], v1 offset1:1
	ds_read_b32 v10, v1 offset:8
	s_waitcnt lgkmcnt(0)
	s_barrier
	s_and_saveexec_b64 s[24:25], s[22:23]
	s_cbranch_execz .LBB37_172
; %bb.145:
	s_movk_i32 s22, 0x2bc
	v_mov_b32_e32 v1, 0x2bc
	v_cmp_gt_u32_e32 vcc, s22, v0
	v_subb_co_u32_e64 v1, s[22:23], v1, v0, vcc
	s_mov_b32 s22, 0x28f5c29
	v_mul_hi_u32 v2, v1, s22
	v_cndmask_b32_e64 v3, 0, 1, vcc
	v_addc_co_u32_e64 v1, s[22:23], 0, v2, vcc
	v_add_u16_e32 v2, v2, v3
	v_lshrrev_b16_e32 v2, 1, v2
	s_mov_b32 s33, 0
	v_mov_b32_e32 v7, 0
	v_add_u32_e32 v2, 1, v2
	v_cmp_lt_u32_e32 vcc, 5, v1
	s_and_saveexec_b64 s[26:27], vcc
	s_cbranch_execz .LBB37_165
; %bb.146:
	v_mov_b32_e32 v4, 0x320
	v_and_b32_e32 v3, 0xfffc, v2
	v_lshl_add_u32 v4, v0, 2, v4
	s_mov_b64 s[28:29], 0
	v_mov_b32_e32 v5, 0
	v_mov_b32_e32 v6, v22
	s_branch .LBB37_148
.LBB37_147:                             ;   in Loop: Header=BB37_148 Depth=1
	s_or_b64 exec, exec, s[22:23]
	v_add_u32_e32 v3, -4, v3
	s_add_i32 s22, s33, 8
	v_cmp_eq_u32_e32 vcc, 0, v3
	s_add_i32 s33, s34, 2
	v_add_u32_e32 v6, 0xc80, v6
	v_add_u32_e32 v4, 0xc80, v4
	s_or_b64 s[28:29], vcc, s[28:29]
	v_mov_b32_e32 v7, s22
	s_andn2_b64 exec, exec, s[28:29]
	s_cbranch_execz .LBB37_164
.LBB37_148:                             ; =>This Inner Loop Header: Depth=1
	s_or_b32 s22, s33, 1
	v_cmp_le_u32_e32 vcc, s22, v1
	v_cmp_le_u32_e64 s[22:23], s33, v1
	s_and_saveexec_b64 s[30:31], s[22:23]
	s_cbranch_execz .LBB37_150
; %bb.149:                              ;   in Loop: Header=BB37_148 Depth=1
	ds_write_b32 v6, v5
.LBB37_150:                             ;   in Loop: Header=BB37_148 Depth=1
	s_or_b64 exec, exec, s[30:31]
	s_and_saveexec_b64 s[22:23], vcc
	s_cbranch_execz .LBB37_152
; %bb.151:                              ;   in Loop: Header=BB37_148 Depth=1
	ds_write_b32 v6, v5 offset:400
.LBB37_152:                             ;   in Loop: Header=BB37_148 Depth=1
	s_or_b64 exec, exec, s[22:23]
	s_add_i32 s34, s33, 2
	s_add_i32 s22, s33, 3
	v_cmp_le_u32_e32 vcc, s22, v1
	v_cmp_le_u32_e64 s[22:23], s34, v1
	s_and_saveexec_b64 s[30:31], s[22:23]
	s_cbranch_execz .LBB37_154
; %bb.153:                              ;   in Loop: Header=BB37_148 Depth=1
	ds_write_b32 v4, v5
.LBB37_154:                             ;   in Loop: Header=BB37_148 Depth=1
	s_or_b64 exec, exec, s[30:31]
	s_and_saveexec_b64 s[22:23], vcc
	s_cbranch_execz .LBB37_156
; %bb.155:                              ;   in Loop: Header=BB37_148 Depth=1
	ds_write_b32 v4, v5 offset:400
.LBB37_156:                             ;   in Loop: Header=BB37_148 Depth=1
	s_or_b64 exec, exec, s[22:23]
	s_add_i32 s35, s34, 2
	s_add_i32 s34, s34, 3
	v_cmp_le_u32_e32 vcc, s34, v1
	v_cmp_le_u32_e64 s[22:23], s35, v1
	s_and_saveexec_b64 s[30:31], s[22:23]
	s_cbranch_execz .LBB37_158
; %bb.157:                              ;   in Loop: Header=BB37_148 Depth=1
	ds_write_b32 v4, v5 offset:800
.LBB37_158:                             ;   in Loop: Header=BB37_148 Depth=1
	s_or_b64 exec, exec, s[30:31]
	s_and_saveexec_b64 s[22:23], vcc
	s_cbranch_execz .LBB37_160
; %bb.159:                              ;   in Loop: Header=BB37_148 Depth=1
	ds_write_b32 v4, v5 offset:1200
.LBB37_160:                             ;   in Loop: Header=BB37_148 Depth=1
	s_or_b64 exec, exec, s[22:23]
	s_add_i32 s34, s35, 2
	s_add_i32 s35, s35, 3
	v_cmp_le_u32_e32 vcc, s35, v1
	v_cmp_le_u32_e64 s[22:23], s34, v1
	s_and_saveexec_b64 s[30:31], s[22:23]
	s_cbranch_execz .LBB37_162
; %bb.161:                              ;   in Loop: Header=BB37_148 Depth=1
	ds_write_b32 v4, v5 offset:1600
.LBB37_162:                             ;   in Loop: Header=BB37_148 Depth=1
	s_or_b64 exec, exec, s[30:31]
	s_and_saveexec_b64 s[22:23], vcc
	s_cbranch_execz .LBB37_147
; %bb.163:                              ;   in Loop: Header=BB37_148 Depth=1
	ds_write_b32 v4, v5 offset:2000
	s_branch .LBB37_147
.LBB37_164:
	s_or_b64 exec, exec, s[28:29]
.LBB37_165:
	s_or_b64 exec, exec, s[26:27]
	v_and_b32_e32 v3, 3, v2
	v_cmp_ne_u32_e32 vcc, 0, v3
	s_and_b64 exec, exec, vcc
	s_cbranch_execz .LBB37_172
; %bb.166:
	s_movk_i32 s22, 0x190
	v_mul_lo_u32 v2, v7, s22
	v_add3_u32 v2, v23, v2, v19
	v_mul_u32_u24_e32 v3, 0x190, v3
	s_mov_b64 s[26:27], 0
	v_mov_b32_e32 v4, 0
	s_branch .LBB37_168
.LBB37_167:                             ;   in Loop: Header=BB37_168 Depth=1
	s_or_b64 exec, exec, s[22:23]
	v_add_u32_e32 v3, 0xfffffe70, v3
	v_cmp_eq_u32_e32 vcc, 0, v3
	v_add_u32_e32 v7, 2, v7
	s_or_b64 s[26:27], vcc, s[26:27]
	v_add_u32_e32 v2, 0x320, v2
	s_andn2_b64 exec, exec, s[26:27]
	s_cbranch_execz .LBB37_172
.LBB37_168:                             ; =>This Inner Loop Header: Depth=1
	v_or_b32_e32 v5, 1, v7
	v_cmp_le_u32_e32 vcc, v5, v1
	v_cmp_le_u32_e64 s[22:23], v7, v1
	s_and_saveexec_b64 s[28:29], s[22:23]
	s_cbranch_execz .LBB37_170
; %bb.169:                              ;   in Loop: Header=BB37_168 Depth=1
	ds_write_b32 v2, v4
.LBB37_170:                             ;   in Loop: Header=BB37_168 Depth=1
	s_or_b64 exec, exec, s[28:29]
	s_and_saveexec_b64 s[22:23], vcc
	s_cbranch_execz .LBB37_167
; %bb.171:                              ;   in Loop: Header=BB37_168 Depth=1
	ds_write_b32 v2, v4 offset:400
	s_branch .LBB37_167
.LBB37_172:
	s_or_b64 exec, exec, s[24:25]
	v_lshrrev_b16_e32 v1, 12, v25
	v_and_b32_e32 v2, 7, v1
	s_movk_i32 s22, 0x64
	v_lshrrev_b32_e32 v1, 2, v1
	v_mad_u32_u24 v2, v2, s22, v0
	v_and_b32_e32 v1, 2, v1
	v_lshl_or_b32 v11, v2, 2, v1
	ds_read_u16 v28, v11
	v_lshrrev_b16_e32 v1, 12, v24
	s_waitcnt lgkmcnt(0)
	v_add_u16_e32 v2, 1, v28
	ds_write_b16 v11, v2
	v_and_b32_e32 v2, 7, v1
	v_lshrrev_b32_e32 v1, 2, v1
	v_mad_u32_u24 v2, v2, s22, v0
	v_and_b32_e32 v1, 2, v1
	v_lshl_or_b32 v23, v2, 2, v1
	ds_read_u16 v29, v23
	s_waitcnt lgkmcnt(0)
	v_add_u16_e32 v1, 1, v29
	ds_write_b16 v23, v1
	v_lshrrev_b16_e32 v1, 12, v12
	v_and_b32_e32 v2, 7, v1
	v_lshrrev_b32_e32 v1, 2, v1
	v_mad_u32_u24 v0, v2, s22, v0
	v_and_b32_e32 v1, 2, v1
	v_lshl_or_b32 v27, v0, 2, v1
	ds_read_u16 v26, v27
	s_waitcnt lgkmcnt(0)
	v_add_u16_e32 v0, 1, v26
	ds_write_b16 v27, v0
	s_waitcnt lgkmcnt(0)
	s_barrier
	ds_read2_b64 v[4:7], v19 offset1:1
	ds_read2_b64 v[0:3], v19 offset0:2 offset1:3
	s_waitcnt lgkmcnt(1)
	v_add_u32_e32 v30, v5, v4
	v_add3_u32 v30, v30, v6, v7
	s_waitcnt lgkmcnt(0)
	v_add3_u32 v30, v30, v0, v1
	v_add3_u32 v3, v30, v2, v3
	s_nop 1
	v_mov_b32_dpp v30, v3 row_shr:1 row_mask:0xf bank_mask:0xf
	v_cndmask_b32_e64 v30, v30, 0, s[20:21]
	v_add_u32_e32 v3, v30, v3
	s_nop 1
	v_mov_b32_dpp v30, v3 row_shr:2 row_mask:0xf bank_mask:0xf
	v_cndmask_b32_e64 v30, 0, v30, s[18:19]
	v_add_u32_e32 v3, v3, v30
	s_nop 1
	v_mov_b32_dpp v30, v3 row_shr:4 row_mask:0xf bank_mask:0xf
	v_cndmask_b32_e64 v30, 0, v30, s[16:17]
	v_add_u32_e32 v3, v3, v30
	s_nop 1
	v_mov_b32_dpp v30, v3 row_shr:8 row_mask:0xf bank_mask:0xf
	v_cndmask_b32_e64 v30, 0, v30, s[14:15]
	v_add_u32_e32 v3, v3, v30
	s_nop 1
	v_mov_b32_dpp v30, v3 row_bcast:15 row_mask:0xf bank_mask:0xf
	v_cndmask_b32_e64 v30, v30, 0, s[12:13]
	v_add_u32_e32 v3, v3, v30
	s_nop 1
	v_mov_b32_dpp v30, v3 row_bcast:31 row_mask:0xf bank_mask:0xf
	v_cndmask_b32_e64 v30, 0, v30, s[8:9]
	v_add_u32_e32 v3, v3, v30
	s_and_saveexec_b64 s[8:9], s[10:11]
	s_cbranch_execz .LBB37_174
; %bb.173:
	ds_write_b32 v21, v3 offset:3200
.LBB37_174:
	s_or_b64 exec, exec, s[8:9]
	s_waitcnt lgkmcnt(0)
	s_barrier
	s_and_saveexec_b64 s[8:9], s[4:5]
	s_cbranch_execz .LBB37_176
; %bb.175:
	ds_read_b32 v30, v22 offset:3200
	s_waitcnt lgkmcnt(0)
	s_nop 0
	v_mov_b32_dpp v31, v30 row_shr:1 row_mask:0xf bank_mask:0xf
	v_cndmask_b32_e64 v31, v31, 0, s[6:7]
	v_add_u32_e32 v30, v31, v30
	ds_write_b32 v22, v30 offset:3200
.LBB37_176:
	s_or_b64 exec, exec, s[8:9]
	v_mov_b32_e32 v30, 0
	v_mov_b32_e32 v22, 0
	s_waitcnt lgkmcnt(0)
	s_barrier
	s_and_saveexec_b64 s[4:5], s[2:3]
	s_cbranch_execz .LBB37_178
; %bb.177:
	ds_read_b32 v22, v21 offset:3196
.LBB37_178:
	s_or_b64 exec, exec, s[4:5]
	s_waitcnt lgkmcnt(0)
	v_add_u32_e32 v3, v22, v3
	ds_bpermute_b32 v3, v20, v3
	ds_read_b32 v20, v30 offset:3204
	v_and_b32_e32 v28, 0xffff, v28
	v_and_b32_e32 v29, 0xffff, v29
	s_waitcnt lgkmcnt(1)
	v_cndmask_b32_e64 v3, v3, v22, s[0:1]
	s_waitcnt lgkmcnt(0)
	v_lshl_add_u32 v20, v20, 16, v3
	v_add_u32_e32 v21, v20, v4
	v_add_u32_e32 v4, v21, v5
	;; [unrolled: 1-line block ×7, first 2 shown]
	ds_write2_b64 v19, v[20:21], v[4:5] offset1:1
	ds_write2_b64 v19, v[6:7], v[0:1] offset0:2 offset1:3
	s_waitcnt lgkmcnt(0)
	s_barrier
	ds_read_u16 v0, v27
	ds_read_u16 v1, v23
	;; [unrolled: 1-line block ×3, first 2 shown]
	v_and_b32_e32 v3, 0xffff, v26
	s_waitcnt lgkmcnt(0)
	v_add_lshl_u32 v0, v0, v3, 1
	v_add_lshl_u32 v5, v1, v29, 1
	;; [unrolled: 1-line block ×3, first 2 shown]
	s_barrier
	ds_write_b16 v4, v25
	ds_write_b16 v5, v24
	;; [unrolled: 1-line block ×3, first 2 shown]
	s_waitcnt lgkmcnt(0)
	s_barrier
	ds_read_b32 v1, v13
	ds_read_u16 v2, v13 offset:4
	v_add_u32_e32 v3, v4, v4
	s_waitcnt lgkmcnt(0)
	s_barrier
	ds_write_b32 v3, v8
	v_add_u32_e32 v3, v5, v5
	v_add_u32_e32 v0, v0, v0
	ds_write_b32 v3, v9
	ds_write_b32 v0, v10
	s_waitcnt lgkmcnt(0)
	s_barrier
.LBB37_179:
	v_add_u32_e32 v0, v13, v18
	ds_read_b32 v6, v0 offset:8
	ds_read2_b32 v[4:5], v0 offset1:1
	global_store_short v[16:17], v2, off offset:4
	global_store_dword v[16:17], v1, off
	s_waitcnt lgkmcnt(0)
	global_store_dwordx3 v[14:15], v[4:6], off
	s_endpgm
	.section	.rodata,"a",@progbits
	.p2align	6, 0x0
	.amdhsa_kernel _Z21sort_key_value_kernelILj100ELj3ELb0ELb0EtiEvPT3_PT4_jj
		.amdhsa_group_segment_fixed_size 3216
		.amdhsa_private_segment_fixed_size 0
		.amdhsa_kernarg_size 24
		.amdhsa_user_sgpr_count 6
		.amdhsa_user_sgpr_private_segment_buffer 1
		.amdhsa_user_sgpr_dispatch_ptr 0
		.amdhsa_user_sgpr_queue_ptr 0
		.amdhsa_user_sgpr_kernarg_segment_ptr 1
		.amdhsa_user_sgpr_dispatch_id 0
		.amdhsa_user_sgpr_flat_scratch_init 0
		.amdhsa_user_sgpr_kernarg_preload_length 0
		.amdhsa_user_sgpr_kernarg_preload_offset 0
		.amdhsa_user_sgpr_private_segment_size 0
		.amdhsa_uses_dynamic_stack 0
		.amdhsa_system_sgpr_private_segment_wavefront_offset 0
		.amdhsa_system_sgpr_workgroup_id_x 1
		.amdhsa_system_sgpr_workgroup_id_y 0
		.amdhsa_system_sgpr_workgroup_id_z 0
		.amdhsa_system_sgpr_workgroup_info 0
		.amdhsa_system_vgpr_workitem_id 0
		.amdhsa_next_free_vgpr 49
		.amdhsa_next_free_sgpr 47
		.amdhsa_accum_offset 52
		.amdhsa_reserve_vcc 1
		.amdhsa_reserve_flat_scratch 0
		.amdhsa_float_round_mode_32 0
		.amdhsa_float_round_mode_16_64 0
		.amdhsa_float_denorm_mode_32 3
		.amdhsa_float_denorm_mode_16_64 3
		.amdhsa_dx10_clamp 1
		.amdhsa_ieee_mode 1
		.amdhsa_fp16_overflow 0
		.amdhsa_tg_split 0
		.amdhsa_exception_fp_ieee_invalid_op 0
		.amdhsa_exception_fp_denorm_src 0
		.amdhsa_exception_fp_ieee_div_zero 0
		.amdhsa_exception_fp_ieee_overflow 0
		.amdhsa_exception_fp_ieee_underflow 0
		.amdhsa_exception_fp_ieee_inexact 0
		.amdhsa_exception_int_div_zero 0
	.end_amdhsa_kernel
	.section	.text._Z21sort_key_value_kernelILj100ELj3ELb0ELb0EtiEvPT3_PT4_jj,"axG",@progbits,_Z21sort_key_value_kernelILj100ELj3ELb0ELb0EtiEvPT3_PT4_jj,comdat
.Lfunc_end37:
	.size	_Z21sort_key_value_kernelILj100ELj3ELb0ELb0EtiEvPT3_PT4_jj, .Lfunc_end37-_Z21sort_key_value_kernelILj100ELj3ELb0ELb0EtiEvPT3_PT4_jj
                                        ; -- End function
	.section	.AMDGPU.csdata,"",@progbits
; Kernel info:
; codeLenInByte = 7632
; NumSgprs: 51
; NumVgprs: 49
; NumAgprs: 0
; TotalNumVgprs: 49
; ScratchSize: 0
; MemoryBound: 0
; FloatMode: 240
; IeeeMode: 1
; LDSByteSize: 3216 bytes/workgroup (compile time only)
; SGPRBlocks: 6
; VGPRBlocks: 6
; NumSGPRsForWavesPerEU: 51
; NumVGPRsForWavesPerEU: 49
; AccumOffset: 52
; Occupancy: 8
; WaveLimiterHint : 0
; COMPUTE_PGM_RSRC2:SCRATCH_EN: 0
; COMPUTE_PGM_RSRC2:USER_SGPR: 6
; COMPUTE_PGM_RSRC2:TRAP_HANDLER: 0
; COMPUTE_PGM_RSRC2:TGID_X_EN: 1
; COMPUTE_PGM_RSRC2:TGID_Y_EN: 0
; COMPUTE_PGM_RSRC2:TGID_Z_EN: 0
; COMPUTE_PGM_RSRC2:TIDIG_COMP_CNT: 0
; COMPUTE_PGM_RSRC3_GFX90A:ACCUM_OFFSET: 12
; COMPUTE_PGM_RSRC3_GFX90A:TG_SPLIT: 0
	.section	.text._Z21sort_key_value_kernelILj464ELj2ELb1ELb1EcdEvPT3_PT4_jj,"axG",@progbits,_Z21sort_key_value_kernelILj464ELj2ELb1ELb1EcdEvPT3_PT4_jj,comdat
	.protected	_Z21sort_key_value_kernelILj464ELj2ELb1ELb1EcdEvPT3_PT4_jj ; -- Begin function _Z21sort_key_value_kernelILj464ELj2ELb1ELb1EcdEvPT3_PT4_jj
	.globl	_Z21sort_key_value_kernelILj464ELj2ELb1ELb1EcdEvPT3_PT4_jj
	.p2align	8
	.type	_Z21sort_key_value_kernelILj464ELj2ELb1ELb1EcdEvPT3_PT4_jj,@function
_Z21sort_key_value_kernelILj464ELj2ELb1ELb1EcdEvPT3_PT4_jj: ; @_Z21sort_key_value_kernelILj464ELj2ELb1ELb1EcdEvPT3_PT4_jj
; %bb.0:
	s_load_dwordx4 s[0:3], s[4:5], 0x0
	s_load_dwordx2 s[34:35], s[4:5], 0x10
	s_mul_i32 s4, s6, 0x3a0
	s_mov_b32 s5, 0
	v_lshlrev_b32_e32 v20, 1, v0
	s_waitcnt lgkmcnt(0)
	s_add_u32 s28, s0, s4
	s_addc_u32 s29, s1, 0
	s_lshl_b64 s[0:1], s[4:5], 3
	s_add_u32 s30, s2, s0
	global_load_ushort v1, v20, s[28:29]
	s_addc_u32 s31, s3, s1
	v_lshlrev_b32_e32 v2, 4, v0
	global_load_dwordx4 v[2:5], v2, s[30:31]
	s_cmp_lg_u32 s34, 0
	s_cselect_b64 s[4:5], -1, 0
	s_cmp_lg_u32 s35, 8
	s_cselect_b64 s[6:7], -1, 0
	s_movk_i32 s8, 0x7f
	s_or_b64 s[4:5], s[4:5], s[6:7]
	v_mbcnt_lo_u32_b32 v24, -1, 0
	v_lshlrev_b32_e32 v19, 5, v0
	v_cmp_gt_u32_e64 s[0:1], 8, v0
	v_cmp_lt_u32_e64 s[2:3], 63, v0
	v_lshrrev_b32_e32 v21, 4, v0
	v_lshlrev_b32_e32 v25, 2, v0
	s_and_b64 vcc, exec, s[4:5]
	s_waitcnt vmcnt(1)
	v_xor_b32_e32 v22, 0x7f, v1
	v_xor_b32_sdwa v23, v1, s8 dst_sel:DWORD dst_unused:UNUSED_PAD src0_sel:BYTE_1 src1_sel:DWORD
	s_cbranch_vccz .LBB38_18
; %bb.1:
	v_lshlrev_b16_e32 v1, 8, v23
	v_or_b32_sdwa v1, v22, v1 dst_sel:DWORD dst_unused:UNUSED_PAD src0_sel:BYTE_0 src1_sel:DWORD
	v_and_b32_e32 v10, 0xffff, v1
	v_mbcnt_hi_u32_b32 v1, -1, v24
	v_and_b32_e32 v6, 15, v1
	v_cmp_eq_u32_e64 s[4:5], 0, v6
	v_cmp_lt_u32_e64 s[6:7], 1, v6
	v_cmp_lt_u32_e64 s[8:9], 3, v6
	;; [unrolled: 1-line block ×3, first 2 shown]
	v_and_b32_e32 v6, 16, v1
	v_cmp_eq_u32_e64 s[12:13], 0, v6
	v_and_b32_e32 v6, 0x1c0, v0
	v_min_u32_e32 v6, 0x190, v6
	v_add_u32_e32 v6, 63, v6
	v_cmp_eq_u32_e64 s[16:17], v6, v0
	v_add_u32_e32 v6, -1, v1
	v_and_b32_e32 v7, 64, v1
	v_cmp_lt_i32_e32 vcc, v6, v7
	v_cmp_lt_u32_e64 s[14:15], 31, v1
	v_cndmask_b32_e32 v6, v6, v1, vcc
	v_cmp_eq_u32_e64 s[18:19], 0, v1
	v_and_b32_e32 v1, 7, v1
	v_cmp_eq_u32_e64 s[20:21], 0, v1
	v_cmp_lt_u32_e64 s[22:23], 1, v1
	v_cmp_lt_u32_e64 s[24:25], 3, v1
	v_sub_u32_e32 v1, 0xcaf, v0
	v_mul_hi_u32_u24_e32 v1, 0x8d3dcc, v1
	v_lshlrev_b32_e32 v26, 2, v6
	v_lshlrev_b32_e32 v28, 2, v0
	v_sub_u32_e32 v6, 0, v20
	v_add_u32_e32 v7, 3, v1
	v_add_u32_e32 v18, 1, v1
	v_and_b32_e32 v27, 28, v21
	v_add_lshl_u32 v29, v21, v20, 3
	v_and_b32_e32 v30, 30, v7
	v_mov_b32_e32 v1, v18
	v_mov_b32_e32 v31, 0
	v_add_u32_e32 v32, v28, v6
	s_waitcnt vmcnt(0)
	v_pk_mov_b32 v[6:7], v[2:3], v[2:3] op_sel:[0,1]
	v_pk_mov_b32 v[8:9], v[4:5], v[4:5] op_sel:[0,1]
	s_branch .LBB38_3
.LBB38_2:                               ;   in Loop: Header=BB38_3 Depth=1
	v_lshrrev_b32_e32 v6, 2, v12
	v_and_b32_e32 v6, 0x7ff8, v6
	v_lshl_add_u32 v6, v12, 3, v6
	s_barrier
	ds_write_b8 v12, v33
	ds_write_b8 v11, v34
	s_waitcnt lgkmcnt(0)
	s_barrier
	ds_read_u16 v10, v32
	s_waitcnt lgkmcnt(0)
	s_barrier
	ds_write_b64 v6, v[16:17]
	v_lshrrev_b32_e32 v6, 2, v11
	v_and_b32_e32 v6, 0x7ff8, v6
	v_lshl_add_u32 v6, v11, 3, v6
	ds_write_b64 v6, v[14:15]
	s_waitcnt lgkmcnt(0)
	s_barrier
	ds_read2_b64 v[6:9], v29 offset1:1
	s_waitcnt lgkmcnt(0)
	s_barrier
	s_cbranch_execz .LBB38_17
.LBB38_3:                               ; =>This Loop Header: Depth=1
                                        ;     Child Loop BB38_5 Depth 2
	v_mov_b32_e32 v33, v10
	v_pk_mov_b32 v[14:15], v[8:9], v[8:9] op_sel:[0,1]
	v_pk_mov_b32 v[16:17], v[6:7], v[6:7] op_sel:[0,1]
	s_mov_b32 s33, 0
	s_mov_b64 s[36:37], 0
	v_mov_b32_e32 v6, v28
	s_branch .LBB38_5
.LBB38_4:                               ;   in Loop: Header=BB38_5 Depth=2
	s_or_b64 exec, exec, s[26:27]
	s_add_i32 s33, s33, 2
	v_cmp_eq_u32_e32 vcc, s33, v30
	s_or_b64 s[36:37], vcc, s[36:37]
	v_add_u32_e32 v6, 0xe80, v6
	s_andn2_b64 exec, exec, s[36:37]
	s_cbranch_execz .LBB38_9
.LBB38_5:                               ;   Parent Loop BB38_3 Depth=1
                                        ; =>  This Inner Loop Header: Depth=2
	s_or_b32 s26, s33, 1
	v_cmp_le_u32_e32 vcc, s26, v1
	v_cmp_le_u32_e64 s[26:27], s33, v18
	s_and_saveexec_b64 s[38:39], s[26:27]
	s_cbranch_execz .LBB38_7
; %bb.6:                                ;   in Loop: Header=BB38_5 Depth=2
	ds_write_b32 v6, v31
.LBB38_7:                               ;   in Loop: Header=BB38_5 Depth=2
	s_or_b64 exec, exec, s[38:39]
	s_and_saveexec_b64 s[26:27], vcc
	s_cbranch_execz .LBB38_4
; %bb.8:                                ;   in Loop: Header=BB38_5 Depth=2
	ds_write_b32 v6, v31 offset:1856
	s_branch .LBB38_4
.LBB38_9:                               ;   in Loop: Header=BB38_3 Depth=1
	s_or_b64 exec, exec, s[36:37]
	s_sub_i32 s26, s35, s34
	s_min_u32 s26, s26, 4
	s_lshl_b32 s26, -1, s26
	s_not_b32 s26, s26
	v_lshrrev_b32_sdwa v6, s34, v33 dst_sel:DWORD dst_unused:UNUSED_PAD src0_sel:DWORD src1_sel:BYTE_0
	v_and_b32_e32 v6, s26, v6
	v_and_b32_e32 v7, 7, v6
	v_mul_u32_u24_e32 v7, 0x1d0, v7
	v_lshrrev_b32_e32 v6, 3, v6
	v_add_lshl_u32 v7, v7, v0, 1
	v_add_lshl_u32 v36, v7, v6, 1
	ds_read_u16 v35, v36
	v_lshrrev_b16_e32 v34, 8, v33
	v_lshrrev_b32_e32 v6, s34, v34
	v_and_b32_e32 v6, s26, v6
	s_waitcnt lgkmcnt(0)
	v_add_u16_e32 v7, 1, v35
	ds_write_b16 v36, v7
	v_and_b32_e32 v7, 7, v6
	v_mul_u32_u24_e32 v7, 0x1d0, v7
	v_lshrrev_b32_e32 v6, 3, v6
	v_add_lshl_u32 v7, v7, v0, 1
	v_add_lshl_u32 v38, v7, v6, 1
	ds_read_u16 v37, v38
	s_waitcnt lgkmcnt(0)
	v_add_u16_e32 v6, 1, v37
	ds_write_b16 v38, v6
	s_waitcnt lgkmcnt(0)
	s_barrier
	ds_read2_b64 v[10:13], v19 offset1:1
	ds_read2_b64 v[6:9], v19 offset0:2 offset1:3
	s_waitcnt lgkmcnt(1)
	v_add_u32_e32 v39, v11, v10
	v_add3_u32 v39, v39, v12, v13
	s_waitcnt lgkmcnt(0)
	v_add3_u32 v39, v39, v6, v7
	v_add3_u32 v9, v39, v8, v9
	s_nop 1
	v_mov_b32_dpp v39, v9 row_shr:1 row_mask:0xf bank_mask:0xf
	v_cndmask_b32_e64 v39, v39, 0, s[4:5]
	v_add_u32_e32 v9, v39, v9
	s_nop 1
	v_mov_b32_dpp v39, v9 row_shr:2 row_mask:0xf bank_mask:0xf
	v_cndmask_b32_e64 v39, 0, v39, s[6:7]
	v_add_u32_e32 v9, v9, v39
	;; [unrolled: 4-line block ×4, first 2 shown]
	s_nop 1
	v_mov_b32_dpp v39, v9 row_bcast:15 row_mask:0xf bank_mask:0xf
	v_cndmask_b32_e64 v39, v39, 0, s[12:13]
	v_add_u32_e32 v9, v9, v39
	s_nop 1
	v_mov_b32_dpp v39, v9 row_bcast:31 row_mask:0xf bank_mask:0xf
	v_cndmask_b32_e64 v39, 0, v39, s[14:15]
	v_add_u32_e32 v9, v9, v39
	s_and_saveexec_b64 s[26:27], s[16:17]
	s_cbranch_execz .LBB38_11
; %bb.10:                               ;   in Loop: Header=BB38_3 Depth=1
	ds_write_b32 v27, v9 offset:14848
.LBB38_11:                              ;   in Loop: Header=BB38_3 Depth=1
	s_or_b64 exec, exec, s[26:27]
	s_waitcnt lgkmcnt(0)
	s_barrier
	s_and_saveexec_b64 s[26:27], s[0:1]
	s_cbranch_execz .LBB38_13
; %bb.12:                               ;   in Loop: Header=BB38_3 Depth=1
	ds_read_b32 v39, v28 offset:14848
	s_waitcnt lgkmcnt(0)
	s_nop 0
	v_mov_b32_dpp v40, v39 row_shr:1 row_mask:0xf bank_mask:0xf
	v_cndmask_b32_e64 v40, v40, 0, s[20:21]
	v_add_u32_e32 v39, v40, v39
	s_nop 1
	v_mov_b32_dpp v40, v39 row_shr:2 row_mask:0xf bank_mask:0xf
	v_cndmask_b32_e64 v40, 0, v40, s[22:23]
	v_add_u32_e32 v39, v39, v40
	;; [unrolled: 4-line block ×3, first 2 shown]
	ds_write_b32 v28, v39 offset:14848
.LBB38_13:                              ;   in Loop: Header=BB38_3 Depth=1
	s_or_b64 exec, exec, s[26:27]
	v_mov_b32_e32 v39, 0
	s_waitcnt lgkmcnt(0)
	s_barrier
	s_and_saveexec_b64 s[26:27], s[2:3]
	s_cbranch_execz .LBB38_15
; %bb.14:                               ;   in Loop: Header=BB38_3 Depth=1
	ds_read_b32 v39, v27 offset:14844
.LBB38_15:                              ;   in Loop: Header=BB38_3 Depth=1
	s_or_b64 exec, exec, s[26:27]
	s_waitcnt lgkmcnt(0)
	v_add_u32_e32 v9, v39, v9
	ds_bpermute_b32 v9, v26, v9
	ds_read_b32 v40, v31 offset:14876
	s_add_i32 s34, s34, 4
	s_cmp_ge_u32 s34, s35
	s_waitcnt lgkmcnt(1)
	v_cndmask_b32_e64 v9, v9, v39, s[18:19]
	s_waitcnt lgkmcnt(0)
	v_lshl_add_u32 v40, v40, 16, v9
	v_add_u32_e32 v41, v40, v10
	v_add_u32_e32 v10, v41, v11
	;; [unrolled: 1-line block ×7, first 2 shown]
	ds_write2_b64 v19, v[40:41], v[10:11] offset1:1
	ds_write2_b64 v19, v[12:13], v[6:7] offset0:2 offset1:3
	s_waitcnt lgkmcnt(0)
	s_barrier
	ds_read_u16 v6, v36
	ds_read_u16 v7, v38
	s_waitcnt lgkmcnt(0)
	v_add_u32_sdwa v12, v6, v35 dst_sel:DWORD dst_unused:UNUSED_PAD src0_sel:DWORD src1_sel:WORD_0
	v_add_u32_sdwa v11, v7, v37 dst_sel:DWORD dst_unused:UNUSED_PAD src0_sel:DWORD src1_sel:WORD_0
	s_cbranch_scc0 .LBB38_2
; %bb.16:
                                        ; implicit-def: $vgpr10
                                        ; implicit-def: $vgpr8_vgpr9
.LBB38_17:
	s_barrier
	ds_write_b8 v12, v33
	ds_write_b8 v11, v34
	s_waitcnt lgkmcnt(0)
	s_barrier
	ds_read_u8 v6, v0 offset:464
	ds_read_u8 v7, v0
	s_waitcnt lgkmcnt(0)
	s_barrier
	v_lshlrev_b16_e32 v6, 8, v6
	v_or_b32_e32 v6, v7, v6
	v_mad_u32_u24 v7, v12, 7, v12
	ds_write_b64 v7, v[16:17]
	v_mad_u32_u24 v7, v11, 7, v11
	v_add_u32_e32 v1, 0x1d0, v0
	v_and_b32_e32 v6, 0xffff, v6
	ds_write_b64 v7, v[14:15]
	s_waitcnt lgkmcnt(0)
	s_barrier
	s_branch .LBB38_44
.LBB38_18:
                                        ; implicit-def: $vgpr1
                                        ; implicit-def: $vgpr6
	s_cbranch_execz .LBB38_44
; %bb.19:
	v_sub_u32_e32 v1, 0xcaf, v0
	v_mul_hi_u32_u24_e32 v1, 0x8d3dcc, v1
	v_add_u32_e32 v6, 3, v1
	v_add_u32_e32 v14, 1, v1
	v_and_b32_e32 v15, 30, v6
	v_mov_b32_e32 v1, v14
	s_mov_b32 s6, 0
	s_mov_b64 s[2:3], 0
	v_mov_b32_e32 v6, 0
	s_branch .LBB38_21
.LBB38_20:                              ;   in Loop: Header=BB38_21 Depth=1
	s_or_b64 exec, exec, s[0:1]
	s_add_i32 s6, s6, 2
	v_cmp_eq_u32_e32 vcc, s6, v15
	s_or_b64 s[2:3], vcc, s[2:3]
	v_add_u32_e32 v25, 0xe80, v25
	s_andn2_b64 exec, exec, s[2:3]
	s_cbranch_execz .LBB38_25
.LBB38_21:                              ; =>This Inner Loop Header: Depth=1
	s_or_b32 s0, s6, 1
	v_cmp_le_u32_e32 vcc, s0, v1
	v_cmp_le_u32_e64 s[0:1], s6, v14
	s_and_saveexec_b64 s[4:5], s[0:1]
	s_cbranch_execz .LBB38_23
; %bb.22:                               ;   in Loop: Header=BB38_21 Depth=1
	ds_write_b32 v25, v6
.LBB38_23:                              ;   in Loop: Header=BB38_21 Depth=1
	s_or_b64 exec, exec, s[4:5]
	s_and_saveexec_b64 s[0:1], vcc
	s_cbranch_execz .LBB38_20
; %bb.24:                               ;   in Loop: Header=BB38_21 Depth=1
	ds_write_b32 v25, v6 offset:1856
	s_branch .LBB38_20
.LBB38_25:
	s_or_b64 exec, exec, s[2:3]
	v_lshrrev_b16_e32 v6, 2, v22
	v_and_b32_e32 v7, 7, v22
	s_movk_i32 s0, 0x1d0
	v_mad_u32_u24 v7, v7, s0, v0
	v_and_b32_e32 v6, 2, v6
	v_lshl_or_b32 v26, v7, 2, v6
	ds_read_u16 v25, v26
	v_and_b32_e32 v8, 7, v23
	v_mad_u32_u24 v8, v8, s0, v0
	v_mbcnt_hi_u32_b32 v28, -1, v24
	v_and_b32_e32 v6, 16, v28
	s_waitcnt lgkmcnt(0)
	v_add_u16_e32 v7, 1, v25
	ds_write_b16 v26, v7
	v_lshrrev_b16_e32 v7, 2, v23
	v_and_b32_e32 v7, 2, v7
	v_lshl_or_b32 v27, v8, 2, v7
	ds_read_u16 v24, v27
	v_cmp_eq_u32_e32 vcc, 0, v6
	v_and_b32_e32 v6, 0x1c0, v0
	v_min_u32_e32 v6, 0x190, v6
	v_add_u32_e32 v16, 63, v6
	s_waitcnt lgkmcnt(0)
	v_add_u16_e32 v6, 1, v24
	ds_write_b16 v27, v6
	s_waitcnt lgkmcnt(0)
	s_barrier
	ds_read2_b64 v[10:13], v19 offset1:1
	ds_read2_b64 v[6:9], v19 offset0:2 offset1:3
	v_and_b32_e32 v18, 15, v28
	v_cmp_eq_u32_e64 s[8:9], 0, v18
	v_cmp_lt_u32_e64 s[10:11], 1, v18
	s_waitcnt lgkmcnt(1)
	v_add_u32_e32 v30, v11, v10
	v_add3_u32 v30, v30, v12, v13
	s_waitcnt lgkmcnt(0)
	v_add3_u32 v30, v30, v6, v7
	v_add3_u32 v9, v30, v8, v9
	v_cmp_lt_u32_e64 s[12:13], 3, v18
	v_cmp_lt_u32_e64 s[16:17], 7, v18
	v_mov_b32_dpp v30, v9 row_shr:1 row_mask:0xf bank_mask:0xf
	v_cndmask_b32_e64 v30, v30, 0, s[8:9]
	v_add_u32_e32 v9, v30, v9
	v_bfe_i32 v29, v28, 4, 1
	v_cmp_lt_u32_e64 s[18:19], 31, v28
	v_mov_b32_dpp v30, v9 row_shr:2 row_mask:0xf bank_mask:0xf
	v_cndmask_b32_e64 v30, 0, v30, s[10:11]
	v_add_u32_e32 v9, v9, v30
	v_mul_i32_i24_e32 v17, 0xffffffe2, v0
	v_cmp_eq_u32_e64 s[0:1], v16, v0
	v_mov_b32_dpp v30, v9 row_shr:4 row_mask:0xf bank_mask:0xf
	v_cndmask_b32_e64 v30, 0, v30, s[12:13]
	v_add_u32_e32 v9, v9, v30
	v_and_b32_e32 v16, 28, v21
	s_nop 0
	v_mov_b32_dpp v30, v9 row_shr:8 row_mask:0xf bank_mask:0xf
	v_cndmask_b32_e64 v18, 0, v30, s[16:17]
	v_add_u32_e32 v9, v9, v18
	s_nop 1
	v_mov_b32_dpp v18, v9 row_bcast:15 row_mask:0xf bank_mask:0xf
	v_and_b32_e32 v18, v29, v18
	v_add_u32_e32 v9, v9, v18
	s_nop 1
	v_mov_b32_dpp v18, v9 row_bcast:31 row_mask:0xf bank_mask:0xf
	v_cndmask_b32_e64 v18, 0, v18, s[18:19]
	v_add_u32_e32 v29, v9, v18
	s_and_saveexec_b64 s[2:3], s[0:1]
	s_cbranch_execz .LBB38_27
; %bb.26:
	ds_write_b32 v16, v29 offset:14848
.LBB38_27:
	s_or_b64 exec, exec, s[2:3]
	v_and_b32_e32 v9, 7, v28
	v_cmp_gt_u32_e64 s[14:15], 8, v0
	v_add3_u32 v17, v19, v17, v20
	v_cmp_eq_u32_e64 s[6:7], 0, v9
	v_cmp_lt_u32_e64 s[2:3], 3, v9
	v_cmp_lt_u32_e64 s[4:5], 1, v9
	s_waitcnt lgkmcnt(0)
	s_barrier
	s_and_saveexec_b64 s[20:21], s[14:15]
	s_cbranch_execz .LBB38_29
; %bb.28:
	ds_read_b32 v9, v17 offset:14848
	s_waitcnt lgkmcnt(0)
	s_nop 0
	v_mov_b32_dpp v18, v9 row_shr:1 row_mask:0xf bank_mask:0xf
	v_cndmask_b32_e64 v18, v18, 0, s[6:7]
	v_add_u32_e32 v9, v18, v9
	s_nop 1
	v_mov_b32_dpp v18, v9 row_shr:2 row_mask:0xf bank_mask:0xf
	v_cndmask_b32_e64 v18, 0, v18, s[4:5]
	v_add_u32_e32 v9, v9, v18
	;; [unrolled: 4-line block ×3, first 2 shown]
	ds_write_b32 v17, v9 offset:14848
.LBB38_29:
	s_or_b64 exec, exec, s[20:21]
	v_cmp_lt_u32_e64 s[20:21], 63, v0
	v_mov_b32_e32 v9, 0
	v_mov_b32_e32 v30, 0
	s_waitcnt lgkmcnt(0)
	s_barrier
	s_and_saveexec_b64 s[22:23], s[20:21]
	s_cbranch_execz .LBB38_31
; %bb.30:
	ds_read_b32 v30, v16 offset:14844
.LBB38_31:
	s_or_b64 exec, exec, s[22:23]
	v_add_u32_e32 v18, -1, v28
	v_and_b32_e32 v31, 64, v28
	v_cmp_lt_i32_e64 s[22:23], v18, v31
	v_cndmask_b32_e64 v18, v18, v28, s[22:23]
	v_lshlrev_b32_e32 v18, 2, v18
	s_waitcnt lgkmcnt(0)
	v_add_u32_e32 v29, v30, v29
	ds_bpermute_b32 v29, v18, v29
	ds_read_b32 v31, v9 offset:14876
	v_cmp_eq_u32_e64 s[22:23], 0, v28
	s_mov_b32 s33, 0
	s_mov_b64 s[34:35], 0
	s_waitcnt lgkmcnt(1)
	v_cndmask_b32_e64 v28, v29, v30, s[22:23]
	s_waitcnt lgkmcnt(0)
	v_lshl_add_u32 v28, v31, 16, v28
	v_add_u32_e32 v29, v28, v10
	v_add_u32_e32 v10, v29, v11
	;; [unrolled: 1-line block ×7, first 2 shown]
	ds_write2_b64 v19, v[28:29], v[10:11] offset1:1
	ds_write2_b64 v19, v[12:13], v[6:7] offset0:2 offset1:3
	s_waitcnt lgkmcnt(0)
	s_barrier
	ds_read_u16 v6, v26
	ds_read_u16 v7, v27
	v_sub_u32_e32 v10, v17, v20
	v_add_lshl_u32 v8, v21, v20, 3
	s_waitcnt lgkmcnt(0)
	v_add_u32_sdwa v6, v6, v25 dst_sel:DWORD dst_unused:UNUSED_PAD src0_sel:DWORD src1_sel:WORD_0
	v_add_u32_sdwa v7, v7, v24 dst_sel:DWORD dst_unused:UNUSED_PAD src0_sel:DWORD src1_sel:WORD_0
	s_barrier
	ds_write_b8 v6, v22
	ds_write_b8 v7, v23
	s_waitcnt lgkmcnt(0)
	s_barrier
	ds_read_u16 v20, v10
	v_lshrrev_b32_e32 v10, 2, v6
	v_and_b32_e32 v10, 0x7ff8, v10
	v_lshl_add_u32 v6, v6, 3, v10
	s_waitcnt lgkmcnt(0)
	s_barrier
	s_waitcnt vmcnt(0)
	ds_write_b64 v6, v[2:3]
	v_lshrrev_b32_e32 v2, 2, v7
	v_and_b32_e32 v2, 0x7ff8, v2
	v_lshl_add_u32 v2, v7, 3, v2
	ds_write_b64 v2, v[4:5]
	s_waitcnt lgkmcnt(0)
	s_barrier
	ds_read2_b64 v[2:5], v8 offset1:1
	v_mov_b32_e32 v6, v17
	s_waitcnt lgkmcnt(0)
	s_barrier
	s_branch .LBB38_33
.LBB38_32:                              ;   in Loop: Header=BB38_33 Depth=1
	s_or_b64 exec, exec, s[26:27]
	s_add_i32 s33, s33, 2
	v_cmp_eq_u32_e64 s[24:25], s33, v15
	s_or_b64 s[34:35], s[24:25], s[34:35]
	v_add_u32_e32 v6, 0xe80, v6
	s_andn2_b64 exec, exec, s[34:35]
	s_cbranch_execz .LBB38_37
.LBB38_33:                              ; =>This Inner Loop Header: Depth=1
	s_or_b32 s24, s33, 1
	v_cmp_le_u32_e64 s[24:25], s24, v1
	v_cmp_le_u32_e64 s[26:27], s33, v14
	s_and_saveexec_b64 s[36:37], s[26:27]
	s_cbranch_execz .LBB38_35
; %bb.34:                               ;   in Loop: Header=BB38_33 Depth=1
	ds_write_b32 v6, v9
.LBB38_35:                              ;   in Loop: Header=BB38_33 Depth=1
	s_or_b64 exec, exec, s[36:37]
	s_and_saveexec_b64 s[26:27], s[24:25]
	s_cbranch_execz .LBB38_32
; %bb.36:                               ;   in Loop: Header=BB38_33 Depth=1
	ds_write_b32 v6, v9 offset:1856
	s_branch .LBB38_32
.LBB38_37:
	s_or_b64 exec, exec, s[34:35]
	v_lshrrev_b16_e32 v1, 4, v20
	v_and_b32_e32 v1, 15, v1
	v_mov_b32_e32 v6, 7
	v_mov_b32_e32 v7, 2
	v_and_b32_sdwa v6, v1, v6 dst_sel:DWORD dst_unused:UNUSED_PAD src0_sel:WORD_0 src1_sel:DWORD
	s_movk_i32 s24, 0x1d0
	v_lshrrev_b32_sdwa v1, v7, v1 dst_sel:DWORD dst_unused:UNUSED_PAD src0_sel:DWORD src1_sel:WORD_0
	v_mad_u32_u24 v6, v6, s24, v0
	v_and_b32_e32 v1, 2, v1
	v_lshl_or_b32 v14, v6, 2, v1
	ds_read_u16 v1, v14
	s_waitcnt lgkmcnt(0)
	v_add_u16_e32 v6, 1, v1
	ds_write_b16 v14, v6
	v_lshrrev_b16_e32 v6, 12, v20
	v_and_b32_e32 v7, 7, v6
	v_lshrrev_b32_e32 v6, 2, v6
	v_mad_u32_u24 v7, v7, s24, v0
	v_and_b32_e32 v6, 2, v6
	v_lshl_or_b32 v21, v7, 2, v6
	ds_read_u16 v15, v21
	s_waitcnt lgkmcnt(0)
	v_add_u16_e32 v6, 1, v15
	ds_write_b16 v21, v6
	s_waitcnt lgkmcnt(0)
	s_barrier
	ds_read2_b64 v[10:13], v19 offset1:1
	ds_read2_b64 v[6:9], v19 offset0:2 offset1:3
	s_waitcnt lgkmcnt(1)
	v_add_u32_e32 v22, v11, v10
	v_add3_u32 v22, v22, v12, v13
	s_waitcnt lgkmcnt(0)
	v_add3_u32 v22, v22, v6, v7
	v_add3_u32 v9, v22, v8, v9
	s_nop 1
	v_mov_b32_dpp v22, v9 row_shr:1 row_mask:0xf bank_mask:0xf
	v_cndmask_b32_e64 v22, v22, 0, s[8:9]
	v_add_u32_e32 v9, v22, v9
	s_nop 1
	v_mov_b32_dpp v22, v9 row_shr:2 row_mask:0xf bank_mask:0xf
	v_cndmask_b32_e64 v22, 0, v22, s[10:11]
	v_add_u32_e32 v9, v9, v22
	;; [unrolled: 4-line block ×4, first 2 shown]
	s_nop 1
	v_mov_b32_dpp v22, v9 row_bcast:15 row_mask:0xf bank_mask:0xf
	v_cndmask_b32_e64 v22, v22, 0, vcc
	v_add_u32_e32 v9, v9, v22
	s_nop 1
	v_mov_b32_dpp v22, v9 row_bcast:31 row_mask:0xf bank_mask:0xf
	v_cndmask_b32_e64 v22, 0, v22, s[18:19]
	v_add_u32_e32 v22, v9, v22
	s_and_saveexec_b64 s[8:9], s[0:1]
	s_cbranch_execz .LBB38_39
; %bb.38:
	ds_write_b32 v16, v22 offset:14848
.LBB38_39:
	s_or_b64 exec, exec, s[8:9]
	s_waitcnt lgkmcnt(0)
	s_barrier
	s_and_saveexec_b64 s[0:1], s[14:15]
	s_cbranch_execz .LBB38_41
; %bb.40:
	ds_read_b32 v9, v17 offset:14848
	s_waitcnt lgkmcnt(0)
	s_nop 0
	v_mov_b32_dpp v23, v9 row_shr:1 row_mask:0xf bank_mask:0xf
	v_cndmask_b32_e64 v23, v23, 0, s[6:7]
	v_add_u32_e32 v9, v23, v9
	s_nop 1
	v_mov_b32_dpp v23, v9 row_shr:2 row_mask:0xf bank_mask:0xf
	v_cndmask_b32_e64 v23, 0, v23, s[4:5]
	v_add_u32_e32 v9, v9, v23
	;; [unrolled: 4-line block ×3, first 2 shown]
	ds_write_b32 v17, v9 offset:14848
.LBB38_41:
	s_or_b64 exec, exec, s[0:1]
	v_lshrrev_b16_e32 v9, 8, v20
	v_mov_b32_e32 v17, 0
	v_mov_b32_e32 v23, 0
	s_waitcnt lgkmcnt(0)
	s_barrier
	s_and_saveexec_b64 s[0:1], s[20:21]
	s_cbranch_execz .LBB38_43
; %bb.42:
	ds_read_b32 v23, v16 offset:14844
.LBB38_43:
	s_or_b64 exec, exec, s[0:1]
	s_waitcnt lgkmcnt(0)
	v_add_u32_e32 v16, v23, v22
	ds_bpermute_b32 v16, v18, v16
	ds_read_b32 v17, v17 offset:14876
	s_waitcnt lgkmcnt(1)
	v_cndmask_b32_e64 v16, v16, v23, s[22:23]
	s_waitcnt lgkmcnt(0)
	v_lshl_add_u32 v16, v17, 16, v16
	v_add_u32_e32 v17, v16, v10
	v_add_u32_e32 v10, v17, v11
	;; [unrolled: 1-line block ×7, first 2 shown]
	ds_write2_b64 v19, v[16:17], v[10:11] offset1:1
	ds_write2_b64 v19, v[12:13], v[6:7] offset0:2 offset1:3
	s_waitcnt lgkmcnt(0)
	s_barrier
	ds_read_u16 v6, v21
	ds_read_u16 v7, v14
	s_waitcnt lgkmcnt(0)
	s_barrier
	v_add_u32_sdwa v8, v6, v15 dst_sel:DWORD dst_unused:UNUSED_PAD src0_sel:DWORD src1_sel:WORD_0
	v_add_u32_sdwa v7, v7, v1 dst_sel:DWORD dst_unused:UNUSED_PAD src0_sel:DWORD src1_sel:WORD_0
	ds_write_b8 v7, v20
	ds_write_b8 v8, v9
	s_waitcnt lgkmcnt(0)
	s_barrier
	ds_read_u8 v6, v0 offset:464
	ds_read_u8 v9, v0
	v_mad_u32_u24 v7, v7, 7, v7
	v_add_u32_e32 v1, 0x1d0, v0
	s_waitcnt lgkmcnt(0)
	v_lshlrev_b16_e32 v6, 8, v6
	v_or_b32_e32 v6, v9, v6
	v_and_b32_e32 v6, 0xffff, v6
	s_barrier
	ds_write_b64 v7, v[2:3]
	v_mad_u32_u24 v2, v8, 7, v8
	ds_write_b64 v2, v[4:5]
	s_waitcnt lgkmcnt(0)
	s_barrier
.LBB38_44:
	v_lshlrev_b32_e32 v7, 3, v0
	v_lshlrev_b32_e32 v1, 3, v1
	s_waitcnt vmcnt(0)
	ds_read_b64 v[2:3], v7
	ds_read_b64 v[4:5], v1
	s_movk_i32 s0, 0x7f
	v_xor_b32_e32 v1, 0x7f, v6
	v_xor_b32_sdwa v6, v6, s0 dst_sel:DWORD dst_unused:UNUSED_PAD src0_sel:BYTE_1 src1_sel:DWORD
	global_store_byte v0, v1, s[28:29]
	global_store_byte v0, v6, s[28:29] offset:464
	s_waitcnt lgkmcnt(1)
	global_store_dwordx2 v7, v[2:3], s[30:31]
	s_waitcnt lgkmcnt(0)
	global_store_dwordx2 v7, v[4:5], s[30:31] offset:3712
	s_endpgm
	.section	.rodata,"a",@progbits
	.p2align	6, 0x0
	.amdhsa_kernel _Z21sort_key_value_kernelILj464ELj2ELb1ELb1EcdEvPT3_PT4_jj
		.amdhsa_group_segment_fixed_size 14880
		.amdhsa_private_segment_fixed_size 0
		.amdhsa_kernarg_size 24
		.amdhsa_user_sgpr_count 6
		.amdhsa_user_sgpr_private_segment_buffer 1
		.amdhsa_user_sgpr_dispatch_ptr 0
		.amdhsa_user_sgpr_queue_ptr 0
		.amdhsa_user_sgpr_kernarg_segment_ptr 1
		.amdhsa_user_sgpr_dispatch_id 0
		.amdhsa_user_sgpr_flat_scratch_init 0
		.amdhsa_user_sgpr_kernarg_preload_length 0
		.amdhsa_user_sgpr_kernarg_preload_offset 0
		.amdhsa_user_sgpr_private_segment_size 0
		.amdhsa_uses_dynamic_stack 0
		.amdhsa_system_sgpr_private_segment_wavefront_offset 0
		.amdhsa_system_sgpr_workgroup_id_x 1
		.amdhsa_system_sgpr_workgroup_id_y 0
		.amdhsa_system_sgpr_workgroup_id_z 0
		.amdhsa_system_sgpr_workgroup_info 0
		.amdhsa_system_vgpr_workitem_id 0
		.amdhsa_next_free_vgpr 42
		.amdhsa_next_free_sgpr 40
		.amdhsa_accum_offset 44
		.amdhsa_reserve_vcc 1
		.amdhsa_reserve_flat_scratch 0
		.amdhsa_float_round_mode_32 0
		.amdhsa_float_round_mode_16_64 0
		.amdhsa_float_denorm_mode_32 3
		.amdhsa_float_denorm_mode_16_64 3
		.amdhsa_dx10_clamp 1
		.amdhsa_ieee_mode 1
		.amdhsa_fp16_overflow 0
		.amdhsa_tg_split 0
		.amdhsa_exception_fp_ieee_invalid_op 0
		.amdhsa_exception_fp_denorm_src 0
		.amdhsa_exception_fp_ieee_div_zero 0
		.amdhsa_exception_fp_ieee_overflow 0
		.amdhsa_exception_fp_ieee_underflow 0
		.amdhsa_exception_fp_ieee_inexact 0
		.amdhsa_exception_int_div_zero 0
	.end_amdhsa_kernel
	.section	.text._Z21sort_key_value_kernelILj464ELj2ELb1ELb1EcdEvPT3_PT4_jj,"axG",@progbits,_Z21sort_key_value_kernelILj464ELj2ELb1ELb1EcdEvPT3_PT4_jj,comdat
.Lfunc_end38:
	.size	_Z21sort_key_value_kernelILj464ELj2ELb1ELb1EcdEvPT3_PT4_jj, .Lfunc_end38-_Z21sort_key_value_kernelILj464ELj2ELb1ELb1EcdEvPT3_PT4_jj
                                        ; -- End function
	.section	.AMDGPU.csdata,"",@progbits
; Kernel info:
; codeLenInByte = 3512
; NumSgprs: 44
; NumVgprs: 42
; NumAgprs: 0
; TotalNumVgprs: 42
; ScratchSize: 0
; MemoryBound: 0
; FloatMode: 240
; IeeeMode: 1
; LDSByteSize: 14880 bytes/workgroup (compile time only)
; SGPRBlocks: 5
; VGPRBlocks: 5
; NumSGPRsForWavesPerEU: 44
; NumVGPRsForWavesPerEU: 42
; AccumOffset: 44
; Occupancy: 8
; WaveLimiterHint : 1
; COMPUTE_PGM_RSRC2:SCRATCH_EN: 0
; COMPUTE_PGM_RSRC2:USER_SGPR: 6
; COMPUTE_PGM_RSRC2:TRAP_HANDLER: 0
; COMPUTE_PGM_RSRC2:TGID_X_EN: 1
; COMPUTE_PGM_RSRC2:TGID_Y_EN: 0
; COMPUTE_PGM_RSRC2:TGID_Z_EN: 0
; COMPUTE_PGM_RSRC2:TIDIG_COMP_CNT: 0
; COMPUTE_PGM_RSRC3_GFX90A:ACCUM_OFFSET: 10
; COMPUTE_PGM_RSRC3_GFX90A:TG_SPLIT: 0
	.section	.text._Z21sort_key_value_kernelILj33ELj5ELb0ELb0EdiEvPT3_PT4_jj,"axG",@progbits,_Z21sort_key_value_kernelILj33ELj5ELb0ELb0EdiEvPT3_PT4_jj,comdat
	.protected	_Z21sort_key_value_kernelILj33ELj5ELb0ELb0EdiEvPT3_PT4_jj ; -- Begin function _Z21sort_key_value_kernelILj33ELj5ELb0ELb0EdiEvPT3_PT4_jj
	.globl	_Z21sort_key_value_kernelILj33ELj5ELb0ELb0EdiEvPT3_PT4_jj
	.p2align	8
	.type	_Z21sort_key_value_kernelILj33ELj5ELb0ELb0EdiEvPT3_PT4_jj,@function
_Z21sort_key_value_kernelILj33ELj5ELb0ELb0EdiEvPT3_PT4_jj: ; @_Z21sort_key_value_kernelILj33ELj5ELb0ELb0EdiEvPT3_PT4_jj
; %bb.0:
	s_load_dwordx4 s[0:3], s[4:5], 0x0
	s_load_dwordx2 s[28:29], s[4:5], 0x10
	s_mul_i32 s4, s6, 0xa5
	s_mov_b32 s5, 0
	s_lshl_b64 s[6:7], s[4:5], 3
	s_waitcnt lgkmcnt(0)
	s_add_u32 s24, s0, s6
	v_mul_u32_u24_e32 v1, 5, v0
	s_addc_u32 s25, s1, s7
	v_lshlrev_b32_e32 v49, 3, v1
	global_load_dwordx4 v[2:5], v49, s[24:25]
	global_load_dwordx4 v[6:9], v49, s[24:25] offset:16
	global_load_dwordx2 v[12:13], v49, s[24:25] offset:32
	s_lshl_b64 s[0:1], s[4:5], 2
	s_add_u32 s26, s2, s0
	v_lshlrev_b32_e32 v50, 2, v1
	s_addc_u32 s27, s3, s1
	global_load_dword v48, v50, s[26:27] offset:16
	global_load_dwordx4 v[18:21], v50, s[26:27]
	s_movk_i32 s4, 0xe7
	v_mbcnt_lo_u32_b32 v1, -1, 0
	v_mov_b32_e32 v10, 0xe7
	v_cmp_gt_u32_e32 vcc, s4, v0
	s_cmp_eq_u32 s28, 0
	s_mov_b32 s8, 0x7c1f07d
	v_mbcnt_hi_u32_b32 v1, -1, v1
	v_subb_co_u32_e64 v10, s[4:5], v10, v0, vcc
	s_cselect_b64 s[20:21], -1, 0
	s_cmp_eq_u32 s29, 64
	v_add_u32_e32 v16, -1, v1
	v_and_b32_e32 v17, 64, v1
	v_mul_hi_u32 v10, v10, s8
	s_cselect_b64 s[34:35], -1, 0
	v_cmp_lt_i32_e64 s[18:19], v16, v17
	v_addc_co_u32_e32 v30, vcc, 0, v10, vcc
	s_and_b64 s[20:21], s[20:21], s[34:35]
	v_bfrev_b32_e32 v11, 1
	v_and_b32_e32 v14, 15, v1
	v_and_b32_e32 v15, 16, v1
	v_cmp_lt_u32_e64 s[4:5], 31, v1
	v_cmp_eq_u32_e64 s[6:7], 0, v1
	v_cndmask_b32_e64 v1, v16, v1, s[18:19]
	s_and_b64 vcc, exec, s[20:21]
	v_lshlrev_b32_e32 v47, 2, v1
	v_cmp_eq_u32_e64 s[8:9], 0, v14
	v_cmp_lt_u32_e64 s[10:11], 1, v14
	v_cmp_lt_u32_e64 s[12:13], 3, v14
	;; [unrolled: 1-line block ×3, first 2 shown]
	s_movk_i32 s0, 0x108
	v_lshlrev_b32_e32 v46, 5, v0
	v_cmp_eq_u32_e64 s[16:17], 0, v15
	s_mov_b64 s[22:23], -1
	s_mov_b32 s30, -1
	v_cmp_gt_u32_e64 s[0:1], s0, v0
	v_cmp_eq_u32_e64 s[2:3], 32, v0
	v_mul_i32_i24_e32 v31, 0xffffffec, v0
	v_lshl_add_u32 v33, v0, 3, v46
	v_lshrrev_b32_e32 v51, 1, v30
	v_cmp_lt_u32_e64 s[18:19], 5, v30
	v_mov_b32_e32 v53, s25
	v_mov_b32_e32 v52, s27
	s_waitcnt vmcnt(4)
	v_cmp_lt_i64_e64 s[20:21], -1, v[2:3]
	v_cndmask_b32_e64 v1, -1, v11, s[20:21]
	v_cmp_lt_i64_e64 s[20:21], -1, v[4:5]
	v_cndmask_b32_e64 v14, -1, v11, s[20:21]
	s_waitcnt vmcnt(3)
	v_cmp_lt_i64_e64 s[20:21], -1, v[6:7]
	v_cndmask_b32_e64 v16, -1, v11, s[20:21]
	v_cmp_lt_i64_e64 s[20:21], -1, v[8:9]
	v_cndmask_b32_e64 v28, -1, v11, s[20:21]
	s_waitcnt vmcnt(2)
	v_cmp_lt_i64_e64 s[20:21], -1, v[12:13]
	v_ashrrev_i32_e32 v10, 31, v3
	v_ashrrev_i32_e32 v15, 31, v5
	;; [unrolled: 1-line block ×4, first 2 shown]
	v_cndmask_b32_e64 v34, -1, v11, s[20:21]
	v_ashrrev_i32_e32 v36, 31, v13
	v_xor_b32_e32 v23, v1, v3
	v_xor_b32_e32 v22, v10, v2
	;; [unrolled: 1-line block ×10, first 2 shown]
	v_lshlrev_b32_e32 v32, 2, v0
	s_cbranch_vccnz .LBB39_36
; %bb.1:
	v_add_u32_e32 v2, 1, v51
	v_and_b32_e32 v3, 3, v2
	v_mov_b32_e32 v1, v30
	v_and_b32_e32 v56, 12, v2
	v_cmp_ne_u32_e64 s[20:21], 0, v3
	v_lshlrev_b32_e32 v10, 2, v0
	s_movk_i32 s25, 0x84
	v_mul_u32_u24_e32 v60, 0x84, v3
	v_mov_b32_e32 v61, 0
	s_brev_b32 s31, -2
	s_waitcnt vmcnt(0)
	v_mov_b32_e32 v42, v18
	v_mov_b32_e32 v43, v19
	;; [unrolled: 1-line block ×5, first 2 shown]
	v_pk_mov_b32 v[2:3], v[22:23], v[22:23] op_sel:[0,1]
	v_pk_mov_b32 v[4:5], v[24:25], v[24:25] op_sel:[0,1]
	;; [unrolled: 1-line block ×5, first 2 shown]
	s_branch .LBB39_3
.LBB39_2:                               ;   in Loop: Header=BB39_3 Depth=1
	v_lshlrev_b32_e32 v42, 2, v67
	v_sub_u32_e32 v42, v71, v42
	; wave barrier
	ds_write_b64 v71, v[38:39]
	ds_write_b64 v70, v[36:37]
	;; [unrolled: 1-line block ×5, first 2 shown]
	s_waitcnt lgkmcnt(0)
	; wave barrier
	s_waitcnt lgkmcnt(0)
	ds_read2_b64 v[2:5], v33 offset1:1
	ds_read2_b64 v[6:9], v33 offset0:2 offset1:3
	ds_read_b64 v[40:41], v33 offset:32
	s_waitcnt lgkmcnt(0)
	; wave barrier
	s_waitcnt lgkmcnt(0)
	ds_write_b32 v42, v59
	v_lshlrev_b32_e32 v42, 2, v65
	v_sub_u32_e32 v42, v70, v42
	ds_write_b32 v42, v58
	v_lshlrev_b32_e32 v42, 2, v64
	v_sub_u32_e32 v42, v69, v42
	;; [unrolled: 3-line block ×4, first 2 shown]
	v_add_u32_e32 v72, v33, v31
	ds_write_b32 v42, v54
	s_waitcnt lgkmcnt(0)
	; wave barrier
	s_waitcnt lgkmcnt(0)
	ds_read2_b32 v[42:43], v72 offset1:1
	ds_read2_b32 v[44:45], v72 offset0:2 offset1:3
	ds_read_b32 v72, v72 offset:16
	s_waitcnt lgkmcnt(0)
	; wave barrier
	s_waitcnt lgkmcnt(0)
	s_cbranch_execz .LBB39_35
.LBB39_3:                               ; =>This Loop Header: Depth=1
                                        ;     Child Loop BB39_7 Depth 2
                                        ;     Child Loop BB39_27 Depth 2
	v_pk_mov_b32 v[12:13], v[40:41], v[40:41] op_sel:[0,1]
	v_pk_mov_b32 v[14:15], v[8:9], v[8:9] op_sel:[0,1]
	;; [unrolled: 1-line block ×5, first 2 shown]
	v_mov_b32_e32 v54, v72
	v_mov_b32_e32 v55, v45
	;; [unrolled: 1-line block ×5, first 2 shown]
	s_and_saveexec_b64 s[34:35], s[0:1]
	s_cbranch_execz .LBB39_31
; %bb.4:                                ;   in Loop: Header=BB39_3 Depth=1
	v_mov_b32_e32 v4, 0
	s_and_saveexec_b64 s[36:37], s[18:19]
	s_cbranch_execz .LBB39_24
; %bb.5:                                ;   in Loop: Header=BB39_3 Depth=1
	s_mov_b32 s27, 0
	s_mov_b64 s[38:39], 0
	v_mov_b32_e32 v2, v56
	v_mov_b32_e32 v3, v10
	s_branch .LBB39_7
.LBB39_6:                               ;   in Loop: Header=BB39_7 Depth=2
	s_or_b64 exec, exec, s[22:23]
	v_add_u32_e32 v2, -4, v2
	s_add_i32 s22, s27, 8
	v_cmp_eq_u32_e32 vcc, 0, v2
	s_add_i32 s27, s33, 2
	v_add_u32_e32 v3, 0x420, v3
	s_or_b64 s[38:39], vcc, s[38:39]
	v_mov_b32_e32 v4, s22
	s_andn2_b64 exec, exec, s[38:39]
	s_cbranch_execz .LBB39_23
.LBB39_7:                               ;   Parent Loop BB39_3 Depth=1
                                        ; =>  This Inner Loop Header: Depth=2
	s_or_b32 s22, s27, 1
	v_cmp_le_u32_e32 vcc, s22, v1
	v_cmp_le_u32_e64 s[22:23], s27, v30
	s_and_saveexec_b64 s[40:41], s[22:23]
	s_cbranch_execz .LBB39_9
; %bb.8:                                ;   in Loop: Header=BB39_7 Depth=2
	ds_write_b32 v3, v61
.LBB39_9:                               ;   in Loop: Header=BB39_7 Depth=2
	s_or_b64 exec, exec, s[40:41]
	s_and_saveexec_b64 s[22:23], vcc
	s_cbranch_execz .LBB39_11
; %bb.10:                               ;   in Loop: Header=BB39_7 Depth=2
	ds_write_b32 v3, v61 offset:132
.LBB39_11:                              ;   in Loop: Header=BB39_7 Depth=2
	s_or_b64 exec, exec, s[22:23]
	s_add_i32 s33, s27, 2
	s_add_i32 s22, s27, 3
	v_cmp_le_u32_e32 vcc, s22, v1
	v_cmp_le_u32_e64 s[22:23], s33, v30
	s_and_saveexec_b64 s[40:41], s[22:23]
	s_cbranch_execz .LBB39_13
; %bb.12:                               ;   in Loop: Header=BB39_7 Depth=2
	ds_write_b32 v3, v61 offset:264
.LBB39_13:                              ;   in Loop: Header=BB39_7 Depth=2
	s_or_b64 exec, exec, s[40:41]
	s_and_saveexec_b64 s[22:23], vcc
	s_cbranch_execz .LBB39_15
; %bb.14:                               ;   in Loop: Header=BB39_7 Depth=2
	ds_write_b32 v3, v61 offset:396
.LBB39_15:                              ;   in Loop: Header=BB39_7 Depth=2
	s_or_b64 exec, exec, s[22:23]
	s_add_i32 s42, s33, 2
	s_add_i32 s33, s33, 3
	v_cmp_le_u32_e32 vcc, s33, v1
	v_cmp_le_u32_e64 s[22:23], s42, v30
	s_and_saveexec_b64 s[40:41], s[22:23]
	s_cbranch_execz .LBB39_17
; %bb.16:                               ;   in Loop: Header=BB39_7 Depth=2
	ds_write_b32 v3, v61 offset:528
.LBB39_17:                              ;   in Loop: Header=BB39_7 Depth=2
	;; [unrolled: 16-line block ×3, first 2 shown]
	s_or_b64 exec, exec, s[40:41]
	s_and_saveexec_b64 s[22:23], vcc
	s_cbranch_execz .LBB39_6
; %bb.22:                               ;   in Loop: Header=BB39_7 Depth=2
	ds_write_b32 v3, v61 offset:924
	s_branch .LBB39_6
.LBB39_23:                              ;   in Loop: Header=BB39_3 Depth=1
	s_or_b64 exec, exec, s[38:39]
.LBB39_24:                              ;   in Loop: Header=BB39_3 Depth=1
	s_or_b64 exec, exec, s[36:37]
	s_and_b64 exec, exec, s[20:21]
	s_cbranch_execz .LBB39_31
; %bb.25:                               ;   in Loop: Header=BB39_3 Depth=1
	v_mad_u64_u32 v[2:3], s[22:23], v4, s25, v[10:11]
	s_mov_b64 s[36:37], 0
	v_mov_b32_e32 v3, v60
	s_branch .LBB39_27
.LBB39_26:                              ;   in Loop: Header=BB39_27 Depth=2
	s_or_b64 exec, exec, s[22:23]
	v_add_u32_e32 v3, 0xffffff7c, v3
	v_cmp_eq_u32_e32 vcc, 0, v3
	v_add_u32_e32 v4, 2, v4
	s_or_b64 s[36:37], vcc, s[36:37]
	v_add_u32_e32 v2, 0x108, v2
	s_andn2_b64 exec, exec, s[36:37]
	s_cbranch_execz .LBB39_31
.LBB39_27:                              ;   Parent Loop BB39_3 Depth=1
                                        ; =>  This Inner Loop Header: Depth=2
	v_or_b32_e32 v5, 1, v4
	v_cmp_le_u32_e32 vcc, v5, v1
	v_cmp_le_u32_e64 s[22:23], v4, v30
	s_and_saveexec_b64 s[38:39], s[22:23]
	s_cbranch_execz .LBB39_29
; %bb.28:                               ;   in Loop: Header=BB39_27 Depth=2
	ds_write_b32 v2, v61
.LBB39_29:                              ;   in Loop: Header=BB39_27 Depth=2
	s_or_b64 exec, exec, s[38:39]
	s_and_saveexec_b64 s[22:23], vcc
	s_cbranch_execz .LBB39_26
; %bb.30:                               ;   in Loop: Header=BB39_27 Depth=2
	ds_write_b32 v2, v61 offset:132
	s_branch .LBB39_26
.LBB39_31:                              ;   in Loop: Header=BB39_3 Depth=1
	s_or_b64 exec, exec, s[34:35]
	s_sub_i32 s22, s29, s28
	s_min_u32 s22, s22, 4
	v_cmp_ne_u64_e32 vcc, s[30:31], v[38:39]
	s_lshl_b32 s22, -1, s22
	v_cndmask_b32_e32 v3, v11, v39, vcc
	v_cndmask_b32_e32 v2, 0, v38, vcc
	s_not_b32 s22, s22
	v_lshrrev_b64 v[2:3], s28, v[2:3]
	v_and_b32_e32 v2, s22, v2
	v_and_b32_e32 v3, 7, v2
	v_mul_u32_u24_e32 v3, 33, v3
	v_lshrrev_b32_e32 v2, 3, v2
	v_add_lshl_u32 v3, v3, v0, 1
	v_add_lshl_u32 v41, v3, v2, 1
	ds_read_u16 v40, v41
	v_cmp_ne_u64_e32 vcc, s[30:31], v[36:37]
	v_cndmask_b32_e32 v3, v11, v37, vcc
	s_waitcnt lgkmcnt(0)
	v_add_u16_e32 v2, 1, v40
	ds_write_b16 v41, v2
	v_cndmask_b32_e32 v2, 0, v36, vcc
	v_lshrrev_b64 v[2:3], s28, v[2:3]
	v_and_b32_e32 v2, s22, v2
	v_and_b32_e32 v3, 7, v2
	v_mul_u32_u24_e32 v3, 33, v3
	v_lshrrev_b32_e32 v2, 3, v2
	v_add_lshl_u32 v3, v3, v0, 1
	v_add_lshl_u32 v43, v3, v2, 1
	ds_read_u16 v42, v43
	v_cmp_ne_u64_e32 vcc, s[30:31], v[16:17]
	v_cndmask_b32_e32 v3, v11, v17, vcc
	s_waitcnt lgkmcnt(0)
	v_add_u16_e32 v2, 1, v42
	ds_write_b16 v43, v2
	v_cndmask_b32_e32 v2, 0, v16, vcc
	;; [unrolled: 14-line block ×4, first 2 shown]
	v_lshrrev_b64 v[2:3], s28, v[2:3]
	v_and_b32_e32 v2, s22, v2
	v_and_b32_e32 v3, 7, v2
	v_mul_u32_u24_e32 v3, 33, v3
	v_lshrrev_b32_e32 v2, 3, v2
	v_add_lshl_u32 v3, v3, v0, 1
	v_add_lshl_u32 v64, v3, v2, 1
	ds_read_u16 v66, v64
	s_waitcnt lgkmcnt(0)
	v_add_u16_e32 v2, 1, v66
	ds_write_b16 v64, v2
	s_waitcnt lgkmcnt(0)
	; wave barrier
	s_waitcnt lgkmcnt(0)
	ds_read2_b64 v[6:9], v46 offset1:1
	ds_read2_b64 v[2:5], v46 offset0:2 offset1:3
	s_waitcnt lgkmcnt(1)
	v_add_u32_e32 v65, v7, v6
	v_add3_u32 v65, v65, v8, v9
	s_waitcnt lgkmcnt(0)
	v_add3_u32 v65, v65, v2, v3
	v_add3_u32 v5, v65, v4, v5
	s_nop 1
	v_mov_b32_dpp v65, v5 row_shr:1 row_mask:0xf bank_mask:0xf
	v_cndmask_b32_e64 v65, v65, 0, s[8:9]
	v_add_u32_e32 v5, v65, v5
	s_nop 1
	v_mov_b32_dpp v65, v5 row_shr:2 row_mask:0xf bank_mask:0xf
	v_cndmask_b32_e64 v65, 0, v65, s[10:11]
	v_add_u32_e32 v5, v5, v65
	;; [unrolled: 4-line block ×4, first 2 shown]
	s_nop 1
	v_mov_b32_dpp v65, v5 row_bcast:15 row_mask:0xf bank_mask:0xf
	v_cndmask_b32_e64 v65, v65, 0, s[16:17]
	v_add_u32_e32 v5, v5, v65
	s_nop 1
	v_mov_b32_dpp v65, v5 row_bcast:31 row_mask:0xf bank_mask:0xf
	v_cndmask_b32_e64 v65, 0, v65, s[4:5]
	v_add_u32_e32 v5, v5, v65
	s_and_saveexec_b64 s[22:23], s[2:3]
	s_cbranch_execz .LBB39_33
; %bb.32:                               ;   in Loop: Header=BB39_3 Depth=1
	ds_write_b32 v61, v5 offset:1056
.LBB39_33:                              ;   in Loop: Header=BB39_3 Depth=1
	s_or_b64 exec, exec, s[22:23]
	ds_bpermute_b32 v5, v47, v5
	s_waitcnt lgkmcnt(0)
	; wave barrier
	s_waitcnt lgkmcnt(0)
	ds_read_b32 v65, v61 offset:1056
	s_add_i32 s28, s28, 4
	v_cndmask_b32_e64 v5, v5, 0, s[6:7]
	s_cmp_ge_u32 s28, s29
	s_waitcnt lgkmcnt(0)
	v_lshl_add_u32 v68, v65, 16, v5
	v_add_u32_e32 v69, v68, v6
	v_add_u32_e32 v6, v69, v7
	;; [unrolled: 1-line block ×7, first 2 shown]
	ds_write2_b64 v46, v[68:69], v[6:7] offset1:1
	ds_write2_b64 v46, v[8:9], v[2:3] offset0:2 offset1:3
	s_waitcnt lgkmcnt(0)
	; wave barrier
	s_waitcnt lgkmcnt(0)
	ds_read_u16 v2, v41
	ds_read_u16 v3, v43
	;; [unrolled: 1-line block ×5, first 2 shown]
	s_waitcnt lgkmcnt(4)
	v_add_u32_sdwa v67, v2, v40 dst_sel:DWORD dst_unused:UNUSED_PAD src0_sel:DWORD src1_sel:WORD_0
	s_waitcnt lgkmcnt(3)
	v_add_u32_sdwa v65, v3, v42 dst_sel:DWORD dst_unused:UNUSED_PAD src0_sel:DWORD src1_sel:WORD_0
	;; [unrolled: 2-line block ×5, first 2 shown]
	v_lshlrev_b32_e32 v71, 3, v67
	v_lshlrev_b32_e32 v70, 3, v65
	;; [unrolled: 1-line block ×5, first 2 shown]
	s_cbranch_scc0 .LBB39_2
; %bb.34:
                                        ; implicit-def: $vgpr40_vgpr41
                                        ; implicit-def: $vgpr8_vgpr9
                                        ; implicit-def: $vgpr4_vgpr5
                                        ; implicit-def: $vgpr72
                                        ; implicit-def: $vgpr45
                                        ; implicit-def: $vgpr43
.LBB39_35:
	v_lshlrev_b32_e32 v1, 2, v67
	v_sub_u32_e32 v1, v71, v1
	; wave barrier
	ds_write_b64 v71, v[38:39]
	ds_write_b64 v70, v[36:37]
	;; [unrolled: 1-line block ×5, first 2 shown]
	s_waitcnt lgkmcnt(0)
	; wave barrier
	s_waitcnt lgkmcnt(0)
	ds_read2_b64 v[2:5], v33 offset1:1
	ds_read2_b64 v[6:9], v33 offset0:2 offset1:3
	ds_read_b64 v[10:11], v33 offset:32
	s_waitcnt lgkmcnt(0)
	; wave barrier
	s_waitcnt lgkmcnt(0)
	ds_write_b32 v1, v59
	v_lshlrev_b32_e32 v1, 2, v65
	v_sub_u32_e32 v1, v70, v1
	ds_write_b32 v1, v58
	v_lshlrev_b32_e32 v1, 2, v64
	v_sub_u32_e32 v1, v69, v1
	;; [unrolled: 3-line block ×4, first 2 shown]
	ds_write_b32 v1, v54
	s_waitcnt lgkmcnt(0)
	; wave barrier
	s_mov_b64 s[22:23], 0
	s_branch .LBB39_37
.LBB39_36:
                                        ; implicit-def: $vgpr2_vgpr3_vgpr4_vgpr5_vgpr6_vgpr7_vgpr8_vgpr9_vgpr10_vgpr11_vgpr12_vgpr13_vgpr14_vgpr15_vgpr16_vgpr17
.LBB39_37:
	v_add_co_u32_e32 v14, vcc, s24, v49
	v_addc_co_u32_e32 v15, vcc, 0, v53, vcc
	v_add_co_u32_e32 v12, vcc, s26, v50
	v_addc_co_u32_e32 v13, vcc, 0, v52, vcc
	s_and_b64 vcc, exec, s[22:23]
	s_cbranch_vccz .LBB39_73
; %bb.38:
	v_add_u32_e32 v2, 1, v51
	v_and_b32_e32 v3, 3, v2
	s_mov_b32 s24, -1
	v_mov_b32_e32 v1, v30
	v_cmp_lt_u32_e64 s[18:19], 5, v30
	v_and_b32_e32 v45, 12, v2
	s_mov_b32 s33, 0
	v_cmp_ne_u32_e64 s[20:21], 0, v3
	s_movk_i32 s36, 0x84
	v_mul_u32_u24_e32 v51, 0x84, v3
	v_mov_b32_e32 v52, 0
	s_brev_b32 s25, -2
	v_bfrev_b32_e32 v53, 1
	s_branch .LBB39_40
.LBB39_39:                              ;   in Loop: Header=BB39_40 Depth=1
	v_lshlrev_b32_e32 v2, 3, v58
	v_lshlrev_b32_e32 v7, 2, v58
	s_waitcnt lgkmcnt(0)
	; wave barrier
	ds_write_b64 v2, v[40:41]
	v_lshlrev_b32_e32 v3, 3, v57
	v_lshlrev_b32_e32 v4, 3, v56
	;; [unrolled: 1-line block ×4, first 2 shown]
	v_sub_u32_e32 v2, v2, v7
	ds_write_b64 v3, v[38:39]
	ds_write_b64 v4, v[36:37]
	;; [unrolled: 1-line block ×4, first 2 shown]
	s_waitcnt lgkmcnt(0)
	; wave barrier
	s_waitcnt lgkmcnt(0)
	ds_read2_b64 v[22:25], v33 offset1:1
	ds_read2_b64 v[26:29], v33 offset0:2 offset1:3
	ds_read_b64 v[34:35], v33 offset:32
	s_waitcnt lgkmcnt(0)
	; wave barrier
	s_waitcnt lgkmcnt(0)
	ds_write_b32 v2, v50
	v_lshlrev_b32_e32 v2, 2, v57
	v_sub_u32_e32 v2, v3, v2
	ds_write_b32 v2, v49
	v_lshlrev_b32_e32 v2, 2, v56
	v_sub_u32_e32 v2, v4, v2
	;; [unrolled: 3-line block ×4, first 2 shown]
	ds_write_b32 v2, v42
	v_add_u32_e32 v2, v33, v31
	s_waitcnt lgkmcnt(0)
	; wave barrier
	s_waitcnt lgkmcnt(0)
	ds_read2_b32 v[18:19], v2 offset1:1
	ds_read2_b32 v[20:21], v2 offset0:2 offset1:3
	ds_read_b32 v48, v2 offset:16
	s_add_i32 s33, s33, 4
	s_waitcnt lgkmcnt(0)
	; wave barrier
	s_waitcnt lgkmcnt(0)
	s_cbranch_execz .LBB39_72
.LBB39_40:                              ; =>This Loop Header: Depth=1
                                        ;     Child Loop BB39_44 Depth 2
                                        ;     Child Loop BB39_64 Depth 2
	v_pk_mov_b32 v[10:11], v[34:35], v[34:35] op_sel:[0,1]
	v_pk_mov_b32 v[16:17], v[28:29], v[28:29] op_sel:[0,1]
	;; [unrolled: 1-line block ×5, first 2 shown]
	s_waitcnt vmcnt(1)
	v_mov_b32_e32 v42, v48
	s_waitcnt vmcnt(0)
	v_mov_b32_e32 v43, v21
	v_mov_b32_e32 v44, v20
	;; [unrolled: 1-line block ×4, first 2 shown]
	s_and_saveexec_b64 s[26:27], s[0:1]
	s_cbranch_execz .LBB39_68
; %bb.41:                               ;   in Loop: Header=BB39_40 Depth=1
	v_mov_b32_e32 v4, 0
	s_and_saveexec_b64 s[28:29], s[18:19]
	s_cbranch_execz .LBB39_61
; %bb.42:                               ;   in Loop: Header=BB39_40 Depth=1
	s_mov_b32 s37, 0
	s_mov_b64 s[30:31], 0
	v_mov_b32_e32 v2, v45
	v_mov_b32_e32 v3, v32
	s_branch .LBB39_44
.LBB39_43:                              ;   in Loop: Header=BB39_44 Depth=2
	s_or_b64 exec, exec, s[22:23]
	v_add_u32_e32 v2, -4, v2
	s_add_i32 s22, s37, 8
	v_cmp_eq_u32_e32 vcc, 0, v2
	s_add_i32 s37, s38, 2
	v_add_u32_e32 v3, 0x420, v3
	s_or_b64 s[30:31], vcc, s[30:31]
	v_mov_b32_e32 v4, s22
	s_andn2_b64 exec, exec, s[30:31]
	s_cbranch_execz .LBB39_60
.LBB39_44:                              ;   Parent Loop BB39_40 Depth=1
                                        ; =>  This Inner Loop Header: Depth=2
	s_or_b32 s22, s37, 1
	v_cmp_le_u32_e32 vcc, s22, v1
	v_cmp_le_u32_e64 s[22:23], s37, v30
	s_and_saveexec_b64 s[34:35], s[22:23]
	s_cbranch_execz .LBB39_46
; %bb.45:                               ;   in Loop: Header=BB39_44 Depth=2
	ds_write_b32 v3, v52
.LBB39_46:                              ;   in Loop: Header=BB39_44 Depth=2
	s_or_b64 exec, exec, s[34:35]
	s_and_saveexec_b64 s[22:23], vcc
	s_cbranch_execz .LBB39_48
; %bb.47:                               ;   in Loop: Header=BB39_44 Depth=2
	ds_write_b32 v3, v52 offset:132
.LBB39_48:                              ;   in Loop: Header=BB39_44 Depth=2
	s_or_b64 exec, exec, s[22:23]
	s_add_i32 s38, s37, 2
	s_add_i32 s22, s37, 3
	v_cmp_le_u32_e32 vcc, s22, v1
	v_cmp_le_u32_e64 s[22:23], s38, v30
	s_and_saveexec_b64 s[34:35], s[22:23]
	s_cbranch_execz .LBB39_50
; %bb.49:                               ;   in Loop: Header=BB39_44 Depth=2
	ds_write_b32 v3, v52 offset:264
.LBB39_50:                              ;   in Loop: Header=BB39_44 Depth=2
	s_or_b64 exec, exec, s[34:35]
	s_and_saveexec_b64 s[22:23], vcc
	s_cbranch_execz .LBB39_52
; %bb.51:                               ;   in Loop: Header=BB39_44 Depth=2
	ds_write_b32 v3, v52 offset:396
.LBB39_52:                              ;   in Loop: Header=BB39_44 Depth=2
	s_or_b64 exec, exec, s[22:23]
	s_add_i32 s39, s38, 2
	s_add_i32 s38, s38, 3
	v_cmp_le_u32_e32 vcc, s38, v1
	v_cmp_le_u32_e64 s[22:23], s39, v30
	s_and_saveexec_b64 s[34:35], s[22:23]
	s_cbranch_execz .LBB39_54
; %bb.53:                               ;   in Loop: Header=BB39_44 Depth=2
	ds_write_b32 v3, v52 offset:528
.LBB39_54:                              ;   in Loop: Header=BB39_44 Depth=2
	s_or_b64 exec, exec, s[34:35]
	s_and_saveexec_b64 s[22:23], vcc
	s_cbranch_execz .LBB39_56
; %bb.55:                               ;   in Loop: Header=BB39_44 Depth=2
	ds_write_b32 v3, v52 offset:660
.LBB39_56:                              ;   in Loop: Header=BB39_44 Depth=2
	s_or_b64 exec, exec, s[22:23]
	s_add_i32 s38, s39, 2
	s_add_i32 s39, s39, 3
	v_cmp_le_u32_e32 vcc, s39, v1
	v_cmp_le_u32_e64 s[22:23], s38, v30
	s_and_saveexec_b64 s[34:35], s[22:23]
	s_cbranch_execz .LBB39_58
; %bb.57:                               ;   in Loop: Header=BB39_44 Depth=2
	ds_write_b32 v3, v52 offset:792
.LBB39_58:                              ;   in Loop: Header=BB39_44 Depth=2
	s_or_b64 exec, exec, s[34:35]
	s_and_saveexec_b64 s[22:23], vcc
	s_cbranch_execz .LBB39_43
; %bb.59:                               ;   in Loop: Header=BB39_44 Depth=2
	ds_write_b32 v3, v52 offset:924
	s_branch .LBB39_43
.LBB39_60:                              ;   in Loop: Header=BB39_40 Depth=1
	s_or_b64 exec, exec, s[30:31]
.LBB39_61:                              ;   in Loop: Header=BB39_40 Depth=1
	s_or_b64 exec, exec, s[28:29]
	s_and_b64 exec, exec, s[20:21]
	s_cbranch_execz .LBB39_68
; %bb.62:                               ;   in Loop: Header=BB39_40 Depth=1
	v_mad_u64_u32 v[2:3], s[22:23], v4, s36, v[32:33]
	s_mov_b64 s[28:29], 0
	v_mov_b32_e32 v3, v51
	s_branch .LBB39_64
.LBB39_63:                              ;   in Loop: Header=BB39_64 Depth=2
	s_or_b64 exec, exec, s[22:23]
	v_add_u32_e32 v3, 0xffffff7c, v3
	v_cmp_eq_u32_e32 vcc, 0, v3
	v_add_u32_e32 v4, 2, v4
	s_or_b64 s[28:29], vcc, s[28:29]
	v_add_u32_e32 v2, 0x108, v2
	s_andn2_b64 exec, exec, s[28:29]
	s_cbranch_execz .LBB39_68
.LBB39_64:                              ;   Parent Loop BB39_40 Depth=1
                                        ; =>  This Inner Loop Header: Depth=2
	v_or_b32_e32 v5, 1, v4
	v_cmp_le_u32_e32 vcc, v5, v1
	v_cmp_le_u32_e64 s[22:23], v4, v30
	s_and_saveexec_b64 s[30:31], s[22:23]
	s_cbranch_execz .LBB39_66
; %bb.65:                               ;   in Loop: Header=BB39_64 Depth=2
	ds_write_b32 v2, v52
.LBB39_66:                              ;   in Loop: Header=BB39_64 Depth=2
	s_or_b64 exec, exec, s[30:31]
	s_and_saveexec_b64 s[22:23], vcc
	s_cbranch_execz .LBB39_63
; %bb.67:                               ;   in Loop: Header=BB39_64 Depth=2
	ds_write_b32 v2, v52 offset:132
	s_branch .LBB39_63
.LBB39_68:                              ;   in Loop: Header=BB39_40 Depth=1
	s_or_b64 exec, exec, s[26:27]
	v_cmp_ne_u64_e32 vcc, s[24:25], v[40:41]
	v_cndmask_b32_e32 v3, v53, v41, vcc
	v_cndmask_b32_e32 v2, 0, v40, vcc
	v_lshrrev_b64 v[2:3], s33, v[2:3]
	v_and_b32_e32 v3, 7, v2
	v_lshrrev_b32_e32 v2, 2, v2
	v_mad_u32_u24 v3, v3, 33, v0
	v_and_b32_e32 v2, 2, v2
	v_lshl_or_b32 v19, v3, 2, v2
	ds_read_u16 v18, v19
	v_cmp_ne_u64_e32 vcc, s[24:25], v[38:39]
	v_cndmask_b32_e32 v3, v53, v39, vcc
	s_waitcnt lgkmcnt(0)
	v_add_u16_e32 v2, 1, v18
	ds_write_b16 v19, v2
	v_cndmask_b32_e32 v2, 0, v38, vcc
	v_lshrrev_b64 v[2:3], s33, v[2:3]
	v_and_b32_e32 v3, 7, v2
	v_lshrrev_b32_e32 v2, 2, v2
	v_mad_u32_u24 v3, v3, 33, v0
	v_and_b32_e32 v2, 2, v2
	v_lshl_or_b32 v21, v3, 2, v2
	ds_read_u16 v20, v21
	v_cmp_ne_u64_e32 vcc, s[24:25], v[36:37]
	v_cndmask_b32_e32 v3, v53, v37, vcc
	s_waitcnt lgkmcnt(0)
	v_add_u16_e32 v2, 1, v20
	ds_write_b16 v21, v2
	v_cndmask_b32_e32 v2, 0, v36, vcc
	v_lshrrev_b64 v[2:3], s33, v[2:3]
	v_and_b32_e32 v3, 7, v2
	v_lshrrev_b32_e32 v2, 2, v2
	v_mad_u32_u24 v3, v3, 33, v0
	v_and_b32_e32 v2, 2, v2
	v_lshl_or_b32 v23, v3, 2, v2
	ds_read_u16 v22, v23
	v_cmp_ne_u64_e32 vcc, s[24:25], v[16:17]
	v_cndmask_b32_e32 v3, v53, v17, vcc
	s_waitcnt lgkmcnt(0)
	v_add_u16_e32 v2, 1, v22
	ds_write_b16 v23, v2
	v_cndmask_b32_e32 v2, 0, v16, vcc
	v_lshrrev_b64 v[2:3], s33, v[2:3]
	v_and_b32_e32 v3, 7, v2
	v_lshrrev_b32_e32 v2, 2, v2
	v_mad_u32_u24 v3, v3, 33, v0
	v_and_b32_e32 v2, 2, v2
	v_lshl_or_b32 v25, v3, 2, v2
	ds_read_u16 v24, v25
	v_cmp_ne_u64_e32 vcc, s[24:25], v[10:11]
	v_cndmask_b32_e32 v3, v53, v11, vcc
	s_waitcnt lgkmcnt(0)
	v_add_u16_e32 v2, 1, v24
	ds_write_b16 v25, v2
	v_cndmask_b32_e32 v2, 0, v10, vcc
	v_lshrrev_b64 v[2:3], s33, v[2:3]
	v_and_b32_e32 v3, 7, v2
	v_lshrrev_b32_e32 v2, 2, v2
	v_mad_u32_u24 v3, v3, 33, v0
	v_and_b32_e32 v2, 2, v2
	v_lshl_or_b32 v27, v3, 2, v2
	ds_read_u16 v26, v27
	s_waitcnt lgkmcnt(0)
	v_add_u16_e32 v2, 1, v26
	ds_write_b16 v27, v2
	s_waitcnt lgkmcnt(0)
	; wave barrier
	s_waitcnt lgkmcnt(0)
	ds_read2_b64 v[6:9], v46 offset1:1
	ds_read2_b64 v[2:5], v46 offset0:2 offset1:3
	s_waitcnt lgkmcnt(1)
	v_add_u32_e32 v28, v7, v6
	v_add3_u32 v28, v28, v8, v9
	s_waitcnt lgkmcnt(0)
	v_add3_u32 v28, v28, v2, v3
	v_add3_u32 v5, v28, v4, v5
	s_nop 1
	v_mov_b32_dpp v28, v5 row_shr:1 row_mask:0xf bank_mask:0xf
	v_cndmask_b32_e64 v28, v28, 0, s[8:9]
	v_add_u32_e32 v5, v28, v5
	s_nop 1
	v_mov_b32_dpp v28, v5 row_shr:2 row_mask:0xf bank_mask:0xf
	v_cndmask_b32_e64 v28, 0, v28, s[10:11]
	v_add_u32_e32 v5, v5, v28
	s_nop 1
	v_mov_b32_dpp v28, v5 row_shr:4 row_mask:0xf bank_mask:0xf
	v_cndmask_b32_e64 v28, 0, v28, s[12:13]
	v_add_u32_e32 v5, v5, v28
	s_nop 1
	v_mov_b32_dpp v28, v5 row_shr:8 row_mask:0xf bank_mask:0xf
	v_cndmask_b32_e64 v28, 0, v28, s[14:15]
	v_add_u32_e32 v5, v5, v28
	s_nop 1
	v_mov_b32_dpp v28, v5 row_bcast:15 row_mask:0xf bank_mask:0xf
	v_cndmask_b32_e64 v28, v28, 0, s[16:17]
	v_add_u32_e32 v5, v5, v28
	s_nop 1
	v_mov_b32_dpp v28, v5 row_bcast:31 row_mask:0xf bank_mask:0xf
	v_cndmask_b32_e64 v28, 0, v28, s[4:5]
	v_add_u32_e32 v5, v5, v28
	s_and_saveexec_b64 s[22:23], s[2:3]
	s_cbranch_execz .LBB39_70
; %bb.69:                               ;   in Loop: Header=BB39_40 Depth=1
	ds_write_b32 v52, v5 offset:1056
.LBB39_70:                              ;   in Loop: Header=BB39_40 Depth=1
	s_or_b64 exec, exec, s[22:23]
	ds_bpermute_b32 v5, v47, v5
	s_waitcnt lgkmcnt(0)
	; wave barrier
	s_waitcnt lgkmcnt(0)
	ds_read_b32 v28, v52 offset:1056
	s_cmp_gt_u32 s33, 59
	v_cndmask_b32_e64 v5, v5, 0, s[6:7]
	s_waitcnt lgkmcnt(0)
	v_lshl_add_u32 v28, v28, 16, v5
	v_add_u32_e32 v29, v28, v6
	v_add_u32_e32 v6, v29, v7
	;; [unrolled: 1-line block ×7, first 2 shown]
	ds_write2_b64 v46, v[28:29], v[6:7] offset1:1
	ds_write2_b64 v46, v[8:9], v[2:3] offset0:2 offset1:3
	s_waitcnt lgkmcnt(0)
	; wave barrier
	s_waitcnt lgkmcnt(0)
	ds_read_u16 v2, v19
	ds_read_u16 v3, v21
	;; [unrolled: 1-line block ×5, first 2 shown]
	s_waitcnt lgkmcnt(4)
	v_add_u32_sdwa v58, v2, v18 dst_sel:DWORD dst_unused:UNUSED_PAD src0_sel:DWORD src1_sel:WORD_0
	s_waitcnt lgkmcnt(3)
	v_add_u32_sdwa v57, v3, v20 dst_sel:DWORD dst_unused:UNUSED_PAD src0_sel:DWORD src1_sel:WORD_0
	;; [unrolled: 2-line block ×5, first 2 shown]
	s_cbranch_scc0 .LBB39_39
; %bb.71:
                                        ; implicit-def: $vgpr34_vgpr35
                                        ; implicit-def: $vgpr28_vgpr29
                                        ; implicit-def: $vgpr24_vgpr25
                                        ; implicit-def: $vgpr48
                                        ; implicit-def: $vgpr21
                                        ; implicit-def: $sgpr33
.LBB39_72:
	v_lshlrev_b32_e32 v0, 3, v58
	v_lshlrev_b32_e32 v1, 3, v57
	;; [unrolled: 1-line block ×4, first 2 shown]
	s_waitcnt lgkmcnt(0)
	; wave barrier
	ds_write_b64 v0, v[40:41]
	ds_write_b64 v1, v[38:39]
	;; [unrolled: 1-line block ×4, first 2 shown]
	v_lshlrev_b32_e32 v17, 2, v58
	v_lshlrev_b32_e32 v16, 3, v55
	v_sub_u32_e32 v0, v0, v17
	ds_write_b64 v16, v[10:11]
	s_waitcnt lgkmcnt(0)
	; wave barrier
	s_waitcnt lgkmcnt(0)
	ds_read2_b64 v[2:5], v33 offset1:1
	ds_read2_b64 v[6:9], v33 offset0:2 offset1:3
	ds_read_b64 v[10:11], v33 offset:32
	s_waitcnt lgkmcnt(0)
	; wave barrier
	s_waitcnt lgkmcnt(0)
	ds_write_b32 v0, v50
	v_lshlrev_b32_e32 v0, 2, v57
	v_sub_u32_e32 v0, v1, v0
	ds_write_b32 v0, v49
	v_lshlrev_b32_e32 v0, 2, v56
	v_sub_u32_e32 v0, v18, v0
	;; [unrolled: 3-line block ×4, first 2 shown]
	ds_write_b32 v0, v42
	s_waitcnt lgkmcnt(0)
	; wave barrier
.LBB39_73:
	v_bfrev_b32_e32 v16, 1
	v_cmp_lt_i64_e32 vcc, -1, v[2:3]
	v_cndmask_b32_e64 v0, v16, -1, vcc
	v_ashrrev_i32_e32 v1, 31, v3
	v_not_b32_e32 v17, v1
	v_xor_b32_e32 v1, v0, v3
	v_cmp_lt_i64_e32 vcc, -1, v[4:5]
	v_ashrrev_i32_e32 v3, 31, v5
	v_xor_b32_e32 v0, v17, v2
	v_cndmask_b32_e64 v2, v16, -1, vcc
	v_not_b32_e32 v17, v3
	v_cmp_lt_i64_e32 vcc, -1, v[6:7]
	v_xor_b32_e32 v3, v2, v5
	v_xor_b32_e32 v2, v17, v4
	v_cndmask_b32_e64 v4, v16, -1, vcc
	v_ashrrev_i32_e32 v5, 31, v7
	v_not_b32_e32 v17, v5
	v_xor_b32_e32 v5, v4, v7
	v_cmp_lt_i64_e32 vcc, -1, v[8:9]
	v_ashrrev_i32_e32 v7, 31, v9
	v_xor_b32_e32 v4, v17, v6
	v_cndmask_b32_e64 v6, v16, -1, vcc
	v_not_b32_e32 v17, v7
	v_cmp_lt_i64_e32 vcc, -1, v[10:11]
	s_waitcnt vmcnt(0)
	v_add_u32_e32 v18, v33, v31
	v_xor_b32_e32 v7, v6, v9
	v_xor_b32_e32 v6, v17, v8
	v_cndmask_b32_e64 v8, v16, -1, vcc
	v_ashrrev_i32_e32 v9, 31, v11
	s_waitcnt lgkmcnt(0)
	v_not_b32_e32 v20, v9
	v_xor_b32_e32 v9, v8, v11
	ds_read2_b32 v[16:17], v18 offset1:1
	ds_read_b32 v11, v18 offset:16
	ds_read2_b32 v[18:19], v18 offset0:2 offset1:3
	v_xor_b32_e32 v8, v20, v10
	global_store_dwordx4 v[14:15], v[0:3], off
	global_store_dwordx4 v[14:15], v[4:7], off offset:16
	global_store_dwordx2 v[14:15], v[8:9], off offset:32
	s_waitcnt lgkmcnt(0)
	global_store_dwordx4 v[12:13], v[16:19], off
	global_store_dword v[12:13], v11, off offset:16
	s_endpgm
	.section	.rodata,"a",@progbits
	.p2align	6, 0x0
	.amdhsa_kernel _Z21sort_key_value_kernelILj33ELj5ELb0ELb0EdiEvPT3_PT4_jj
		.amdhsa_group_segment_fixed_size 1328
		.amdhsa_private_segment_fixed_size 0
		.amdhsa_kernarg_size 24
		.amdhsa_user_sgpr_count 6
		.amdhsa_user_sgpr_private_segment_buffer 1
		.amdhsa_user_sgpr_dispatch_ptr 0
		.amdhsa_user_sgpr_queue_ptr 0
		.amdhsa_user_sgpr_kernarg_segment_ptr 1
		.amdhsa_user_sgpr_dispatch_id 0
		.amdhsa_user_sgpr_flat_scratch_init 0
		.amdhsa_user_sgpr_kernarg_preload_length 0
		.amdhsa_user_sgpr_kernarg_preload_offset 0
		.amdhsa_user_sgpr_private_segment_size 0
		.amdhsa_uses_dynamic_stack 0
		.amdhsa_system_sgpr_private_segment_wavefront_offset 0
		.amdhsa_system_sgpr_workgroup_id_x 1
		.amdhsa_system_sgpr_workgroup_id_y 0
		.amdhsa_system_sgpr_workgroup_id_z 0
		.amdhsa_system_sgpr_workgroup_info 0
		.amdhsa_system_vgpr_workitem_id 0
		.amdhsa_next_free_vgpr 73
		.amdhsa_next_free_sgpr 43
		.amdhsa_accum_offset 76
		.amdhsa_reserve_vcc 1
		.amdhsa_reserve_flat_scratch 0
		.amdhsa_float_round_mode_32 0
		.amdhsa_float_round_mode_16_64 0
		.amdhsa_float_denorm_mode_32 3
		.amdhsa_float_denorm_mode_16_64 3
		.amdhsa_dx10_clamp 1
		.amdhsa_ieee_mode 1
		.amdhsa_fp16_overflow 0
		.amdhsa_tg_split 0
		.amdhsa_exception_fp_ieee_invalid_op 0
		.amdhsa_exception_fp_denorm_src 0
		.amdhsa_exception_fp_ieee_div_zero 0
		.amdhsa_exception_fp_ieee_overflow 0
		.amdhsa_exception_fp_ieee_underflow 0
		.amdhsa_exception_fp_ieee_inexact 0
		.amdhsa_exception_int_div_zero 0
	.end_amdhsa_kernel
	.section	.text._Z21sort_key_value_kernelILj33ELj5ELb0ELb0EdiEvPT3_PT4_jj,"axG",@progbits,_Z21sort_key_value_kernelILj33ELj5ELb0ELb0EdiEvPT3_PT4_jj,comdat
.Lfunc_end39:
	.size	_Z21sort_key_value_kernelILj33ELj5ELb0ELb0EdiEvPT3_PT4_jj, .Lfunc_end39-_Z21sort_key_value_kernelILj33ELj5ELb0ELb0EdiEvPT3_PT4_jj
                                        ; -- End function
	.section	.AMDGPU.csdata,"",@progbits
; Kernel info:
; codeLenInByte = 4432
; NumSgprs: 47
; NumVgprs: 73
; NumAgprs: 0
; TotalNumVgprs: 73
; ScratchSize: 0
; MemoryBound: 0
; FloatMode: 240
; IeeeMode: 1
; LDSByteSize: 1328 bytes/workgroup (compile time only)
; SGPRBlocks: 5
; VGPRBlocks: 9
; NumSGPRsForWavesPerEU: 47
; NumVGPRsForWavesPerEU: 73
; AccumOffset: 76
; Occupancy: 6
; WaveLimiterHint : 0
; COMPUTE_PGM_RSRC2:SCRATCH_EN: 0
; COMPUTE_PGM_RSRC2:USER_SGPR: 6
; COMPUTE_PGM_RSRC2:TRAP_HANDLER: 0
; COMPUTE_PGM_RSRC2:TGID_X_EN: 1
; COMPUTE_PGM_RSRC2:TGID_Y_EN: 0
; COMPUTE_PGM_RSRC2:TGID_Z_EN: 0
; COMPUTE_PGM_RSRC2:TIDIG_COMP_CNT: 0
; COMPUTE_PGM_RSRC3_GFX90A:ACCUM_OFFSET: 18
; COMPUTE_PGM_RSRC3_GFX90A:TG_SPLIT: 0
	.section	.text._Z21sort_key_value_kernelILj256ELj7ELb0ELb0EtcEvPT3_PT4_jj,"axG",@progbits,_Z21sort_key_value_kernelILj256ELj7ELb0ELb0EtcEvPT3_PT4_jj,comdat
	.protected	_Z21sort_key_value_kernelILj256ELj7ELb0ELb0EtcEvPT3_PT4_jj ; -- Begin function _Z21sort_key_value_kernelILj256ELj7ELb0ELb0EtcEvPT3_PT4_jj
	.globl	_Z21sort_key_value_kernelILj256ELj7ELb0ELb0EtcEvPT3_PT4_jj
	.p2align	8
	.type	_Z21sort_key_value_kernelILj256ELj7ELb0ELb0EtcEvPT3_PT4_jj,@function
_Z21sort_key_value_kernelILj256ELj7ELb0ELb0EtcEvPT3_PT4_jj: ; @_Z21sort_key_value_kernelILj256ELj7ELb0ELb0EtcEvPT3_PT4_jj
; %bb.0:
	s_load_dwordx4 s[0:3], s[4:5], 0x0
	s_load_dwordx2 s[36:37], s[4:5], 0x10
	s_mul_i32 s28, s6, 0x700
	s_mov_b32 s29, 0
	s_lshl_b64 s[6:7], s[28:29], 1
	s_waitcnt lgkmcnt(0)
	s_add_u32 s30, s0, s6
	v_and_b32_e32 v4, 0x3ff, v0
	s_addc_u32 s31, s1, s7
	v_mul_u32_u24_e32 v5, 7, v4
	s_add_u32 s34, s2, s28
	v_lshlrev_b32_e32 v17, 1, v5
	s_addc_u32 s35, s3, 0
	global_load_ushort v1, v17, s[30:31] offset:12
	global_load_dwordx3 v[6:8], v17, s[30:31]
	global_load_ushort v27, v5, s[34:35] offset:4
	global_load_dword v10, v5, s[34:35]
	global_load_sbyte v28, v5, s[34:35] offset:6
	v_mbcnt_lo_u32_b32 v2, -1, 0
	s_movk_i32 s12, 0x1c0
	v_mbcnt_hi_u32_b32 v20, -1, v2
	v_bfe_u32 v29, v0, 10, 10
	v_bfe_u32 v30, v0, 20, 10
	v_lshrrev_b32_e32 v0, 6, v4
	s_cmp_lg_u32 s36, 0
	v_mad_u32_u24 v31, v0, s12, v20
	s_cselect_b64 s[12:13], -1, 0
	s_cmp_lg_u32 s37, 16
	v_mul_u32_u24_e32 v2, 0x1c0, v0
	s_cselect_b64 s[14:15], -1, 0
	v_mad_u32_u24 v32, v20, 7, v2
	s_or_b64 s[12:13], s[12:13], s[14:15]
	v_lshlrev_b32_e32 v18, 4, v4
	v_and_b32_e32 v25, 15, v20
	v_and_b32_e32 v26, 16, v20
	v_cmp_lt_u32_e64 s[0:1], 31, v20
	v_cmp_gt_u32_e64 s[2:3], 4, v4
	v_cmp_lt_u32_e64 s[6:7], 63, v4
	v_add_u32_e32 v21, -1, v20
	v_and_b32_e32 v22, 64, v20
	v_cmp_eq_u32_e64 s[8:9], 0, v20
	v_cmp_eq_u32_e64 s[10:11], 0, v4
	v_mul_i32_i24_e32 v23, -12, v4
	v_and_b32_e32 v24, 3, v20
	v_lshlrev_b32_e32 v19, 2, v0
	v_lshlrev_b32_e32 v33, 1, v31
	;; [unrolled: 1-line block ×3, first 2 shown]
	v_mov_b32_e32 v37, s31
	v_mov_b32_e32 v36, s35
	s_and_b64 vcc, exec, s[12:13]
	s_waitcnt vmcnt(3)
	ds_write_b96 v0, v[6:8]
	ds_write_b16 v0, v1 offset:12
	s_waitcnt vmcnt(2)
	v_and_b32_e32 v11, 0xffff, v27
	s_waitcnt vmcnt(1)
	v_lshrrev_b32_e32 v34, 8, v10
	v_lshrrev_b32_e32 v35, 16, v10
	v_lshrrev_b64 v[12:13], 24, v[10:11]
	v_lshrrev_b32_e32 v11, 8, v11
	s_cbranch_vccz .LBB40_26
; %bb.1:
	; wave barrier
	ds_read_u16 v3, v33
	ds_read_u16 v8, v33 offset:128
	ds_read_u16 v9, v33 offset:256
	;; [unrolled: 1-line block ×6, first 2 shown]
	s_waitcnt lgkmcnt(0)
	s_barrier
	ds_write_b8 v32, v10
	ds_write_b8 v32, v34 offset:1
	ds_write_b8 v32, v35 offset:2
	;; [unrolled: 1-line block ×5, first 2 shown]
	s_waitcnt vmcnt(0)
	ds_write_b8 v32, v28 offset:6
	; wave barrier
	ds_read_u8 v42, v31
	ds_read_u8 v43, v31 offset:64
	ds_read_u8 v44, v31 offset:128
	;; [unrolled: 1-line block ×6, first 2 shown]
	s_waitcnt lgkmcnt(0)
	s_barrier
	s_load_dword s12, s[4:5], 0x24
	v_cmp_lt_i32_e32 vcc, v21, v22
	s_mov_b32 s31, 0x5040100
	s_mov_b32 s28, s29
	;; [unrolled: 1-line block ×3, first 2 shown]
	s_waitcnt lgkmcnt(0)
	s_lshr_b32 s13, s12, 16
	s_and_b32 s12, s12, 0xffff
	v_mad_u32_u24 v6, v30, s13, v29
	v_mad_u64_u32 v[6:7], s[12:13], v6, s12, v[4:5]
	v_lshrrev_b32_e32 v13, 6, v6
	v_and_b32_e32 v6, 0x3c0, v4
	v_min_u32_e32 v7, 0xc0, v6
	v_or_b32_e32 v7, 63, v7
	v_cmp_eq_u32_e64 s[22:23], v7, v4
	v_cndmask_b32_e32 v7, v21, v20, vcc
	v_lshlrev_b32_e32 v38, 2, v7
	v_mad_u32_u24 v40, v6, 7, v20
	v_lshlrev_b16_e32 v6, 8, v43
	v_lshlrev_b16_e32 v7, 8, v45
	v_or_b32_e32 v6, v42, v6
	v_or_b32_sdwa v7, v44, v7 dst_sel:WORD_1 dst_unused:UNUSED_PAD src0_sel:DWORD src1_sel:DWORD
	s_mov_b32 s39, s29
	v_cmp_eq_u32_e64 s[12:13], 0, v25
	v_cmp_lt_u32_e64 s[14:15], 1, v25
	v_cmp_lt_u32_e64 s[16:17], 3, v25
	;; [unrolled: 1-line block ×3, first 2 shown]
	v_cmp_eq_u32_e64 s[20:21], 0, v26
	v_cmp_eq_u32_e64 s[24:25], 0, v24
	v_cmp_lt_u32_e64 s[26:27], 1, v24
	v_add_u32_e32 v39, -4, v19
	v_lshlrev_b32_e32 v41, 1, v40
	v_or_b32_sdwa v50, v6, v7 dst_sel:DWORD dst_unused:UNUSED_PAD src0_sel:WORD_0 src1_sel:DWORD
	v_perm_b32 v49, v8, v3, s31
	v_perm_b32 v68, v14, v9, s31
	;; [unrolled: 1-line block ×3, first 2 shown]
	s_sub_i32 s35, s37, s36
	v_add_u32_e32 v45, v18, v23
	s_mov_b32 s33, 0x3020104
	v_pk_mov_b32 v[6:7], s[28:29], s[28:29] op_sel:[0,1]
	v_pk_mov_b32 v[8:9], s[38:39], s[38:39] op_sel:[0,1]
	v_mov_b32_e32 v14, 0
	s_branch .LBB40_3
.LBB40_2:                               ;   in Loop: Header=BB40_3 Depth=1
	v_lshrrev_b32_e32 v1, 8, v16
	s_barrier
	ds_write_b16 v60, v49
	ds_write_b16 v61, v51
	;; [unrolled: 1-line block ×7, first 2 shown]
	s_waitcnt lgkmcnt(0)
	s_barrier
	ds_read_u16 v49, v41
	ds_read_u16 v68, v41 offset:128
	ds_read_u16 v69, v41 offset:256
	;; [unrolled: 1-line block ×6, first 2 shown]
	s_waitcnt lgkmcnt(0)
	s_barrier
	ds_write_b8 v59, v16
	ds_write_b8 v55, v1
	ds_write_b8_d16_hi v57, v16
	v_lshrrev_b32_e32 v1, 24, v16
	ds_write_b8 v15, v1
	ds_write_b8 v52, v44
	;; [unrolled: 1-line block ×4, first 2 shown]
	s_waitcnt lgkmcnt(0)
	s_barrier
	ds_read_u8 v50, v40
	ds_read_u8 v73, v40 offset:64
	ds_read_u8 v74, v40 offset:128
	;; [unrolled: 1-line block ×6, first 2 shown]
	s_waitcnt lgkmcnt(5)
	v_lshlrev_b16_e32 v73, 8, v73
	v_or_b32_e32 v50, v50, v73
	s_waitcnt lgkmcnt(3)
	v_lshlrev_b16_e32 v73, 8, v75
	v_or_b32_sdwa v73, v74, v73 dst_sel:WORD_1 dst_unused:UNUSED_PAD src0_sel:DWORD src1_sel:DWORD
	v_or_b32_sdwa v50, v50, v73 dst_sel:DWORD dst_unused:UNUSED_PAD src0_sel:WORD_0 src1_sel:DWORD
	v_perm_b32 v49, v68, v49, s31
	v_perm_b32 v68, v70, v69, s31
	;; [unrolled: 1-line block ×3, first 2 shown]
	s_add_i32 s35, s35, -8
	s_waitcnt lgkmcnt(0)
	s_barrier
	s_cbranch_execz .LBB40_25
.LBB40_3:                               ; =>This Inner Loop Header: Depth=1
	s_min_u32 s28, s35, 8
	s_lshl_b32 s28, -1, s28
	v_mov_b32_e32 v46, v0
	s_not_b32 s38, s28
	v_lshrrev_b32_sdwa v0, s36, v49 dst_sel:DWORD dst_unused:UNUSED_PAD src0_sel:DWORD src1_sel:WORD_0
	v_and_b32_e32 v0, s38, v0
	v_mov_b32_e32 v44, v1
	v_lshl_add_u32 v1, v0, 2, v13
	v_lshl_add_u32 v52, v1, 2, 16
	v_and_b32_e32 v1, 1, v0
	v_mov_b32_e32 v43, v2
	v_add_co_u32_e32 v2, vcc, -1, v1
	v_addc_co_u32_e64 v3, s[28:29], 0, -1, vcc
	v_cmp_ne_u32_e32 vcc, 0, v1
	v_lshlrev_b32_e32 v15, 30, v0
	v_xor_b32_e32 v1, vcc_hi, v3
	v_not_b32_e32 v3, v15
	v_xor_b32_e32 v2, vcc_lo, v2
	v_cmp_gt_i64_e32 vcc, 0, v[14:15]
	v_ashrrev_i32_e32 v3, 31, v3
	v_and_b32_e32 v1, exec_hi, v1
	v_xor_b32_e32 v15, vcc_hi, v3
	v_and_b32_e32 v2, exec_lo, v2
	v_xor_b32_e32 v3, vcc_lo, v3
	v_and_b32_e32 v1, v1, v15
	v_lshlrev_b32_e32 v15, 29, v0
	v_and_b32_e32 v2, v2, v3
	v_not_b32_e32 v3, v15
	v_cmp_gt_i64_e32 vcc, 0, v[14:15]
	v_ashrrev_i32_e32 v3, 31, v3
	v_xor_b32_e32 v15, vcc_hi, v3
	v_xor_b32_e32 v3, vcc_lo, v3
	v_and_b32_e32 v1, v1, v15
	v_lshlrev_b32_e32 v15, 28, v0
	v_and_b32_e32 v2, v2, v3
	v_not_b32_e32 v3, v15
	v_cmp_gt_i64_e32 vcc, 0, v[14:15]
	v_ashrrev_i32_e32 v3, 31, v3
	v_xor_b32_e32 v15, vcc_hi, v3
	;; [unrolled: 8-line block ×5, first 2 shown]
	v_and_b32_e32 v1, v1, v15
	v_lshlrev_b32_e32 v15, 24, v0
	v_not_b32_e32 v0, v15
	v_xor_b32_e32 v3, vcc_lo, v3
	v_cmp_gt_i64_e32 vcc, 0, v[14:15]
	v_ashrrev_i32_e32 v0, 31, v0
	v_and_b32_e32 v2, v2, v3
	v_xor_b32_e32 v3, vcc_hi, v0
	v_xor_b32_e32 v0, vcc_lo, v0
	v_and_b32_e32 v0, v2, v0
	v_and_b32_e32 v1, v1, v3
	v_mbcnt_lo_u32_b32 v2, v0, 0
	v_mbcnt_hi_u32_b32 v53, v1, v2
	v_cmp_eq_u32_e32 vcc, 0, v53
	v_cmp_ne_u64_e64 s[28:29], 0, v[0:1]
	v_mov_b32_e32 v47, v69
	v_mov_b32_e32 v48, v68
	;; [unrolled: 1-line block ×3, first 2 shown]
	s_and_b64 s[40:41], s[28:29], vcc
	ds_write2_b64 v18, v[6:7], v[8:9] offset0:2 offset1:3
	s_waitcnt lgkmcnt(0)
	s_barrier
	s_waitcnt lgkmcnt(0)
	; wave barrier
	s_and_saveexec_b64 s[28:29], s[40:41]
	s_cbranch_execz .LBB40_5
; %bb.4:                                ;   in Loop: Header=BB40_3 Depth=1
	v_bcnt_u32_b32 v0, v0, 0
	v_bcnt_u32_b32 v0, v1, v0
	ds_write_b32 v52, v0
.LBB40_5:                               ;   in Loop: Header=BB40_3 Depth=1
	s_or_b64 exec, exec, s[28:29]
	v_lshrrev_b32_e32 v51, 16, v49
	v_lshrrev_b32_e32 v0, s36, v51
	v_and_b32_e32 v0, s38, v0
	v_lshlrev_b32_e32 v1, 2, v0
	v_add_lshl_u32 v1, v1, v13, 2
	; wave barrier
	v_add_u32_e32 v55, 16, v1
	ds_read_b32 v54, v1 offset:16
	v_and_b32_e32 v1, 1, v0
	v_add_co_u32_e32 v2, vcc, -1, v1
	v_addc_co_u32_e64 v3, s[28:29], 0, -1, vcc
	v_cmp_ne_u32_e32 vcc, 0, v1
	v_lshlrev_b32_e32 v15, 30, v0
	v_xor_b32_e32 v1, vcc_hi, v3
	v_not_b32_e32 v3, v15
	v_xor_b32_e32 v2, vcc_lo, v2
	v_cmp_gt_i64_e32 vcc, 0, v[14:15]
	v_ashrrev_i32_e32 v3, 31, v3
	v_and_b32_e32 v1, exec_hi, v1
	v_xor_b32_e32 v15, vcc_hi, v3
	v_and_b32_e32 v2, exec_lo, v2
	v_xor_b32_e32 v3, vcc_lo, v3
	v_and_b32_e32 v1, v1, v15
	v_lshlrev_b32_e32 v15, 29, v0
	v_and_b32_e32 v2, v2, v3
	v_not_b32_e32 v3, v15
	v_cmp_gt_i64_e32 vcc, 0, v[14:15]
	v_ashrrev_i32_e32 v3, 31, v3
	v_xor_b32_e32 v15, vcc_hi, v3
	v_xor_b32_e32 v3, vcc_lo, v3
	v_and_b32_e32 v1, v1, v15
	v_lshlrev_b32_e32 v15, 28, v0
	v_and_b32_e32 v2, v2, v3
	v_not_b32_e32 v3, v15
	v_cmp_gt_i64_e32 vcc, 0, v[14:15]
	v_ashrrev_i32_e32 v3, 31, v3
	v_xor_b32_e32 v15, vcc_hi, v3
	;; [unrolled: 8-line block ×5, first 2 shown]
	v_and_b32_e32 v1, v1, v15
	v_lshlrev_b32_e32 v15, 24, v0
	v_not_b32_e32 v0, v15
	v_xor_b32_e32 v3, vcc_lo, v3
	v_cmp_gt_i64_e32 vcc, 0, v[14:15]
	v_ashrrev_i32_e32 v0, 31, v0
	v_and_b32_e32 v2, v2, v3
	v_xor_b32_e32 v3, vcc_hi, v0
	v_xor_b32_e32 v0, vcc_lo, v0
	v_and_b32_e32 v0, v2, v0
	v_and_b32_e32 v1, v1, v3
	v_mbcnt_lo_u32_b32 v2, v0, 0
	v_mbcnt_hi_u32_b32 v57, v1, v2
	v_cmp_eq_u32_e32 vcc, 0, v57
	v_cmp_ne_u64_e64 s[28:29], 0, v[0:1]
	s_and_b64 s[40:41], s[28:29], vcc
	; wave barrier
	s_and_saveexec_b64 s[28:29], s[40:41]
	s_cbranch_execz .LBB40_7
; %bb.6:                                ;   in Loop: Header=BB40_3 Depth=1
	v_bcnt_u32_b32 v0, v0, 0
	v_bcnt_u32_b32 v0, v1, v0
	s_waitcnt lgkmcnt(0)
	v_add_u32_e32 v0, v54, v0
	ds_write_b32 v55, v0
.LBB40_7:                               ;   in Loop: Header=BB40_3 Depth=1
	s_or_b64 exec, exec, s[28:29]
	v_lshrrev_b32_sdwa v0, s36, v48 dst_sel:DWORD dst_unused:UNUSED_PAD src0_sel:DWORD src1_sel:WORD_0
	v_and_b32_e32 v0, s38, v0
	v_lshlrev_b32_e32 v1, 2, v0
	v_add_lshl_u32 v1, v1, v13, 2
	; wave barrier
	v_add_u32_e32 v59, 16, v1
	ds_read_b32 v58, v1 offset:16
	v_and_b32_e32 v1, 1, v0
	v_add_co_u32_e32 v2, vcc, -1, v1
	v_addc_co_u32_e64 v3, s[28:29], 0, -1, vcc
	v_cmp_ne_u32_e32 vcc, 0, v1
	v_lshlrev_b32_e32 v15, 30, v0
	v_xor_b32_e32 v1, vcc_hi, v3
	v_not_b32_e32 v3, v15
	v_xor_b32_e32 v2, vcc_lo, v2
	v_cmp_gt_i64_e32 vcc, 0, v[14:15]
	v_ashrrev_i32_e32 v3, 31, v3
	v_and_b32_e32 v1, exec_hi, v1
	v_xor_b32_e32 v15, vcc_hi, v3
	v_and_b32_e32 v2, exec_lo, v2
	v_xor_b32_e32 v3, vcc_lo, v3
	v_and_b32_e32 v1, v1, v15
	v_lshlrev_b32_e32 v15, 29, v0
	v_and_b32_e32 v2, v2, v3
	v_not_b32_e32 v3, v15
	v_cmp_gt_i64_e32 vcc, 0, v[14:15]
	v_ashrrev_i32_e32 v3, 31, v3
	v_xor_b32_e32 v15, vcc_hi, v3
	v_xor_b32_e32 v3, vcc_lo, v3
	v_and_b32_e32 v1, v1, v15
	v_lshlrev_b32_e32 v15, 28, v0
	v_and_b32_e32 v2, v2, v3
	v_not_b32_e32 v3, v15
	v_cmp_gt_i64_e32 vcc, 0, v[14:15]
	v_ashrrev_i32_e32 v3, 31, v3
	v_xor_b32_e32 v15, vcc_hi, v3
	;; [unrolled: 8-line block ×5, first 2 shown]
	v_and_b32_e32 v1, v1, v15
	v_lshlrev_b32_e32 v15, 24, v0
	v_not_b32_e32 v0, v15
	v_xor_b32_e32 v3, vcc_lo, v3
	v_cmp_gt_i64_e32 vcc, 0, v[14:15]
	v_ashrrev_i32_e32 v0, 31, v0
	v_and_b32_e32 v2, v2, v3
	v_xor_b32_e32 v3, vcc_hi, v0
	v_xor_b32_e32 v0, vcc_lo, v0
	v_and_b32_e32 v0, v2, v0
	v_and_b32_e32 v1, v1, v3
	v_mbcnt_lo_u32_b32 v2, v0, 0
	v_mbcnt_hi_u32_b32 v60, v1, v2
	v_cmp_eq_u32_e32 vcc, 0, v60
	v_cmp_ne_u64_e64 s[28:29], 0, v[0:1]
	s_and_b64 s[40:41], s[28:29], vcc
	; wave barrier
	s_and_saveexec_b64 s[28:29], s[40:41]
	s_cbranch_execz .LBB40_9
; %bb.8:                                ;   in Loop: Header=BB40_3 Depth=1
	v_bcnt_u32_b32 v0, v0, 0
	v_bcnt_u32_b32 v0, v1, v0
	s_waitcnt lgkmcnt(0)
	v_add_u32_e32 v0, v58, v0
	ds_write_b32 v59, v0
.LBB40_9:                               ;   in Loop: Header=BB40_3 Depth=1
	s_or_b64 exec, exec, s[28:29]
	v_lshrrev_b32_e32 v56, 16, v48
	v_lshrrev_b32_e32 v0, s36, v56
	v_and_b32_e32 v0, s38, v0
	v_lshlrev_b32_e32 v1, 2, v0
	v_add_lshl_u32 v1, v1, v13, 2
	; wave barrier
	v_add_u32_e32 v62, 16, v1
	ds_read_b32 v61, v1 offset:16
	v_and_b32_e32 v1, 1, v0
	v_add_co_u32_e32 v2, vcc, -1, v1
	v_addc_co_u32_e64 v3, s[28:29], 0, -1, vcc
	v_cmp_ne_u32_e32 vcc, 0, v1
	v_lshlrev_b32_e32 v15, 30, v0
	v_xor_b32_e32 v1, vcc_hi, v3
	v_not_b32_e32 v3, v15
	v_xor_b32_e32 v2, vcc_lo, v2
	v_cmp_gt_i64_e32 vcc, 0, v[14:15]
	v_ashrrev_i32_e32 v3, 31, v3
	v_and_b32_e32 v1, exec_hi, v1
	v_xor_b32_e32 v15, vcc_hi, v3
	v_and_b32_e32 v2, exec_lo, v2
	v_xor_b32_e32 v3, vcc_lo, v3
	v_and_b32_e32 v1, v1, v15
	v_lshlrev_b32_e32 v15, 29, v0
	v_and_b32_e32 v2, v2, v3
	v_not_b32_e32 v3, v15
	v_cmp_gt_i64_e32 vcc, 0, v[14:15]
	v_ashrrev_i32_e32 v3, 31, v3
	v_xor_b32_e32 v15, vcc_hi, v3
	v_xor_b32_e32 v3, vcc_lo, v3
	v_and_b32_e32 v1, v1, v15
	v_lshlrev_b32_e32 v15, 28, v0
	v_and_b32_e32 v2, v2, v3
	v_not_b32_e32 v3, v15
	v_cmp_gt_i64_e32 vcc, 0, v[14:15]
	v_ashrrev_i32_e32 v3, 31, v3
	v_xor_b32_e32 v15, vcc_hi, v3
	;; [unrolled: 8-line block ×5, first 2 shown]
	v_and_b32_e32 v1, v1, v15
	v_lshlrev_b32_e32 v15, 24, v0
	v_not_b32_e32 v0, v15
	v_xor_b32_e32 v3, vcc_lo, v3
	v_cmp_gt_i64_e32 vcc, 0, v[14:15]
	v_ashrrev_i32_e32 v0, 31, v0
	v_and_b32_e32 v2, v2, v3
	v_xor_b32_e32 v3, vcc_hi, v0
	v_xor_b32_e32 v0, vcc_lo, v0
	v_and_b32_e32 v0, v2, v0
	v_and_b32_e32 v1, v1, v3
	v_mbcnt_lo_u32_b32 v2, v0, 0
	v_mbcnt_hi_u32_b32 v64, v1, v2
	v_cmp_eq_u32_e32 vcc, 0, v64
	v_cmp_ne_u64_e64 s[28:29], 0, v[0:1]
	s_and_b64 s[40:41], s[28:29], vcc
	; wave barrier
	s_and_saveexec_b64 s[28:29], s[40:41]
	s_cbranch_execz .LBB40_11
; %bb.10:                               ;   in Loop: Header=BB40_3 Depth=1
	v_bcnt_u32_b32 v0, v0, 0
	v_bcnt_u32_b32 v0, v1, v0
	s_waitcnt lgkmcnt(0)
	v_add_u32_e32 v0, v61, v0
	ds_write_b32 v62, v0
.LBB40_11:                              ;   in Loop: Header=BB40_3 Depth=1
	s_or_b64 exec, exec, s[28:29]
	v_lshrrev_b32_sdwa v0, s36, v47 dst_sel:DWORD dst_unused:UNUSED_PAD src0_sel:DWORD src1_sel:WORD_0
	v_and_b32_e32 v0, s38, v0
	v_lshlrev_b32_e32 v1, 2, v0
	v_add_lshl_u32 v1, v1, v13, 2
	; wave barrier
	v_add_u32_e32 v66, 16, v1
	ds_read_b32 v65, v1 offset:16
	v_and_b32_e32 v1, 1, v0
	v_add_co_u32_e32 v2, vcc, -1, v1
	v_addc_co_u32_e64 v3, s[28:29], 0, -1, vcc
	v_cmp_ne_u32_e32 vcc, 0, v1
	v_lshlrev_b32_e32 v15, 30, v0
	v_xor_b32_e32 v1, vcc_hi, v3
	v_not_b32_e32 v3, v15
	v_xor_b32_e32 v2, vcc_lo, v2
	v_cmp_gt_i64_e32 vcc, 0, v[14:15]
	v_ashrrev_i32_e32 v3, 31, v3
	v_and_b32_e32 v1, exec_hi, v1
	v_xor_b32_e32 v15, vcc_hi, v3
	v_and_b32_e32 v2, exec_lo, v2
	v_xor_b32_e32 v3, vcc_lo, v3
	v_and_b32_e32 v1, v1, v15
	v_lshlrev_b32_e32 v15, 29, v0
	v_and_b32_e32 v2, v2, v3
	v_not_b32_e32 v3, v15
	v_cmp_gt_i64_e32 vcc, 0, v[14:15]
	v_ashrrev_i32_e32 v3, 31, v3
	v_xor_b32_e32 v15, vcc_hi, v3
	v_xor_b32_e32 v3, vcc_lo, v3
	v_and_b32_e32 v1, v1, v15
	v_lshlrev_b32_e32 v15, 28, v0
	v_and_b32_e32 v2, v2, v3
	v_not_b32_e32 v3, v15
	v_cmp_gt_i64_e32 vcc, 0, v[14:15]
	v_ashrrev_i32_e32 v3, 31, v3
	v_xor_b32_e32 v15, vcc_hi, v3
	;; [unrolled: 8-line block ×5, first 2 shown]
	v_and_b32_e32 v1, v1, v15
	v_lshlrev_b32_e32 v15, 24, v0
	v_not_b32_e32 v0, v15
	v_xor_b32_e32 v3, vcc_lo, v3
	v_cmp_gt_i64_e32 vcc, 0, v[14:15]
	v_ashrrev_i32_e32 v0, 31, v0
	v_and_b32_e32 v2, v2, v3
	v_xor_b32_e32 v3, vcc_hi, v0
	v_xor_b32_e32 v0, vcc_lo, v0
	v_and_b32_e32 v0, v2, v0
	v_and_b32_e32 v1, v1, v3
	v_mbcnt_lo_u32_b32 v2, v0, 0
	v_mbcnt_hi_u32_b32 v67, v1, v2
	v_cmp_eq_u32_e32 vcc, 0, v67
	v_cmp_ne_u64_e64 s[28:29], 0, v[0:1]
	s_and_b64 s[40:41], s[28:29], vcc
	; wave barrier
	s_and_saveexec_b64 s[28:29], s[40:41]
	s_cbranch_execz .LBB40_13
; %bb.12:                               ;   in Loop: Header=BB40_3 Depth=1
	v_bcnt_u32_b32 v0, v0, 0
	v_bcnt_u32_b32 v0, v1, v0
	s_waitcnt lgkmcnt(0)
	v_add_u32_e32 v0, v65, v0
	ds_write_b32 v66, v0
.LBB40_13:                              ;   in Loop: Header=BB40_3 Depth=1
	s_or_b64 exec, exec, s[28:29]
	v_lshrrev_b32_e32 v63, 16, v47
	v_lshrrev_b32_e32 v0, s36, v63
	v_and_b32_e32 v0, s38, v0
	v_lshlrev_b32_e32 v1, 2, v0
	v_add_lshl_u32 v1, v1, v13, 2
	; wave barrier
	v_add_u32_e32 v69, 16, v1
	ds_read_b32 v68, v1 offset:16
	v_and_b32_e32 v1, 1, v0
	v_add_co_u32_e32 v2, vcc, -1, v1
	v_addc_co_u32_e64 v3, s[28:29], 0, -1, vcc
	v_cmp_ne_u32_e32 vcc, 0, v1
	v_lshlrev_b32_e32 v15, 30, v0
	v_xor_b32_e32 v1, vcc_hi, v3
	v_not_b32_e32 v3, v15
	v_xor_b32_e32 v2, vcc_lo, v2
	v_cmp_gt_i64_e32 vcc, 0, v[14:15]
	v_ashrrev_i32_e32 v3, 31, v3
	v_and_b32_e32 v1, exec_hi, v1
	v_xor_b32_e32 v15, vcc_hi, v3
	v_and_b32_e32 v2, exec_lo, v2
	v_xor_b32_e32 v3, vcc_lo, v3
	v_and_b32_e32 v1, v1, v15
	v_lshlrev_b32_e32 v15, 29, v0
	v_and_b32_e32 v2, v2, v3
	v_not_b32_e32 v3, v15
	v_cmp_gt_i64_e32 vcc, 0, v[14:15]
	v_ashrrev_i32_e32 v3, 31, v3
	v_xor_b32_e32 v15, vcc_hi, v3
	v_xor_b32_e32 v3, vcc_lo, v3
	v_and_b32_e32 v1, v1, v15
	v_lshlrev_b32_e32 v15, 28, v0
	v_and_b32_e32 v2, v2, v3
	v_not_b32_e32 v3, v15
	v_cmp_gt_i64_e32 vcc, 0, v[14:15]
	v_ashrrev_i32_e32 v3, 31, v3
	v_xor_b32_e32 v15, vcc_hi, v3
	v_xor_b32_e32 v3, vcc_lo, v3
	v_and_b32_e32 v1, v1, v15
	v_lshlrev_b32_e32 v15, 27, v0
	v_and_b32_e32 v2, v2, v3
	v_not_b32_e32 v3, v15
	v_cmp_gt_i64_e32 vcc, 0, v[14:15]
	v_ashrrev_i32_e32 v3, 31, v3
	v_xor_b32_e32 v15, vcc_hi, v3
	v_xor_b32_e32 v3, vcc_lo, v3
	v_and_b32_e32 v1, v1, v15
	v_lshlrev_b32_e32 v15, 26, v0
	v_and_b32_e32 v2, v2, v3
	v_not_b32_e32 v3, v15
	v_cmp_gt_i64_e32 vcc, 0, v[14:15]
	v_ashrrev_i32_e32 v3, 31, v3
	v_xor_b32_e32 v15, vcc_hi, v3
	v_xor_b32_e32 v3, vcc_lo, v3
	v_and_b32_e32 v1, v1, v15
	v_lshlrev_b32_e32 v15, 25, v0
	v_and_b32_e32 v2, v2, v3
	v_not_b32_e32 v3, v15
	v_cmp_gt_i64_e32 vcc, 0, v[14:15]
	v_ashrrev_i32_e32 v3, 31, v3
	v_xor_b32_e32 v15, vcc_hi, v3
	v_and_b32_e32 v1, v1, v15
	v_lshlrev_b32_e32 v15, 24, v0
	v_not_b32_e32 v0, v15
	v_xor_b32_e32 v3, vcc_lo, v3
	v_cmp_gt_i64_e32 vcc, 0, v[14:15]
	v_ashrrev_i32_e32 v0, 31, v0
	v_and_b32_e32 v2, v2, v3
	v_xor_b32_e32 v3, vcc_hi, v0
	v_xor_b32_e32 v0, vcc_lo, v0
	v_and_b32_e32 v0, v2, v0
	v_and_b32_e32 v1, v1, v3
	v_mbcnt_lo_u32_b32 v2, v0, 0
	v_mbcnt_hi_u32_b32 v70, v1, v2
	v_cmp_eq_u32_e32 vcc, 0, v70
	v_cmp_ne_u64_e64 s[28:29], 0, v[0:1]
	s_and_b64 s[40:41], s[28:29], vcc
	; wave barrier
	s_and_saveexec_b64 s[28:29], s[40:41]
	s_cbranch_execz .LBB40_15
; %bb.14:                               ;   in Loop: Header=BB40_3 Depth=1
	v_bcnt_u32_b32 v0, v0, 0
	v_bcnt_u32_b32 v0, v1, v0
	s_waitcnt lgkmcnt(0)
	v_add_u32_e32 v0, v68, v0
	ds_write_b32 v69, v0
.LBB40_15:                              ;   in Loop: Header=BB40_3 Depth=1
	s_or_b64 exec, exec, s[28:29]
	v_lshrrev_b32_sdwa v0, s36, v46 dst_sel:DWORD dst_unused:UNUSED_PAD src0_sel:DWORD src1_sel:WORD_0
	v_and_b32_e32 v0, s38, v0
	v_lshlrev_b32_e32 v1, 2, v0
	v_add_lshl_u32 v1, v1, v13, 2
	; wave barrier
	v_add_u32_e32 v72, 16, v1
	ds_read_b32 v71, v1 offset:16
	v_and_b32_e32 v1, 1, v0
	v_add_co_u32_e32 v2, vcc, -1, v1
	v_addc_co_u32_e64 v3, s[28:29], 0, -1, vcc
	v_cmp_ne_u32_e32 vcc, 0, v1
	v_lshlrev_b32_e32 v15, 30, v0
	v_xor_b32_e32 v1, vcc_hi, v3
	v_not_b32_e32 v3, v15
	v_xor_b32_e32 v2, vcc_lo, v2
	v_cmp_gt_i64_e32 vcc, 0, v[14:15]
	v_ashrrev_i32_e32 v3, 31, v3
	v_and_b32_e32 v1, exec_hi, v1
	v_xor_b32_e32 v15, vcc_hi, v3
	v_and_b32_e32 v2, exec_lo, v2
	v_xor_b32_e32 v3, vcc_lo, v3
	v_and_b32_e32 v1, v1, v15
	v_lshlrev_b32_e32 v15, 29, v0
	v_and_b32_e32 v2, v2, v3
	v_not_b32_e32 v3, v15
	v_cmp_gt_i64_e32 vcc, 0, v[14:15]
	v_ashrrev_i32_e32 v3, 31, v3
	v_xor_b32_e32 v15, vcc_hi, v3
	v_xor_b32_e32 v3, vcc_lo, v3
	v_and_b32_e32 v1, v1, v15
	v_lshlrev_b32_e32 v15, 28, v0
	v_and_b32_e32 v2, v2, v3
	v_not_b32_e32 v3, v15
	v_cmp_gt_i64_e32 vcc, 0, v[14:15]
	v_ashrrev_i32_e32 v3, 31, v3
	v_xor_b32_e32 v15, vcc_hi, v3
	;; [unrolled: 8-line block ×5, first 2 shown]
	v_and_b32_e32 v1, v1, v15
	v_lshlrev_b32_e32 v15, 24, v0
	v_not_b32_e32 v0, v15
	v_xor_b32_e32 v3, vcc_lo, v3
	v_cmp_gt_i64_e32 vcc, 0, v[14:15]
	v_ashrrev_i32_e32 v0, 31, v0
	v_and_b32_e32 v2, v2, v3
	v_xor_b32_e32 v3, vcc_hi, v0
	v_xor_b32_e32 v0, vcc_lo, v0
	v_and_b32_e32 v0, v2, v0
	v_and_b32_e32 v1, v1, v3
	v_mbcnt_lo_u32_b32 v2, v0, 0
	v_mbcnt_hi_u32_b32 v73, v1, v2
	v_cmp_eq_u32_e32 vcc, 0, v73
	v_cmp_ne_u64_e64 s[28:29], 0, v[0:1]
	s_and_b64 s[38:39], s[28:29], vcc
	; wave barrier
	s_and_saveexec_b64 s[28:29], s[38:39]
	s_cbranch_execz .LBB40_17
; %bb.16:                               ;   in Loop: Header=BB40_3 Depth=1
	v_bcnt_u32_b32 v0, v0, 0
	v_bcnt_u32_b32 v0, v1, v0
	s_waitcnt lgkmcnt(0)
	v_add_u32_e32 v0, v71, v0
	ds_write_b32 v72, v0
.LBB40_17:                              ;   in Loop: Header=BB40_3 Depth=1
	s_or_b64 exec, exec, s[28:29]
	; wave barrier
	s_waitcnt lgkmcnt(0)
	s_barrier
	ds_read2_b64 v[0:3], v18 offset0:2 offset1:3
	s_waitcnt lgkmcnt(0)
	v_add_u32_e32 v15, v1, v0
	v_add3_u32 v3, v15, v2, v3
	s_nop 1
	v_mov_b32_dpp v15, v3 row_shr:1 row_mask:0xf bank_mask:0xf
	v_cndmask_b32_e64 v15, v15, 0, s[12:13]
	v_add_u32_e32 v3, v15, v3
	s_nop 1
	v_mov_b32_dpp v15, v3 row_shr:2 row_mask:0xf bank_mask:0xf
	v_cndmask_b32_e64 v15, 0, v15, s[14:15]
	v_add_u32_e32 v3, v3, v15
	;; [unrolled: 4-line block ×4, first 2 shown]
	s_nop 1
	v_mov_b32_dpp v15, v3 row_bcast:15 row_mask:0xf bank_mask:0xf
	v_cndmask_b32_e64 v15, v15, 0, s[20:21]
	v_add_u32_e32 v3, v3, v15
	s_nop 1
	v_mov_b32_dpp v15, v3 row_bcast:31 row_mask:0xf bank_mask:0xf
	v_cndmask_b32_e64 v15, 0, v15, s[0:1]
	v_add_u32_e32 v3, v3, v15
	s_and_saveexec_b64 s[28:29], s[22:23]
	s_cbranch_execz .LBB40_19
; %bb.18:                               ;   in Loop: Header=BB40_3 Depth=1
	ds_write_b32 v19, v3
.LBB40_19:                              ;   in Loop: Header=BB40_3 Depth=1
	s_or_b64 exec, exec, s[28:29]
	s_waitcnt lgkmcnt(0)
	s_barrier
	s_and_saveexec_b64 s[28:29], s[2:3]
	s_cbranch_execz .LBB40_21
; %bb.20:                               ;   in Loop: Header=BB40_3 Depth=1
	ds_read_b32 v15, v45
	s_waitcnt lgkmcnt(0)
	s_nop 0
	v_mov_b32_dpp v16, v15 row_shr:1 row_mask:0xf bank_mask:0xf
	v_cndmask_b32_e64 v16, v16, 0, s[24:25]
	v_add_u32_e32 v15, v16, v15
	s_nop 1
	v_mov_b32_dpp v16, v15 row_shr:2 row_mask:0xf bank_mask:0xf
	v_cndmask_b32_e64 v16, 0, v16, s[26:27]
	v_add_u32_e32 v15, v15, v16
	ds_write_b32 v45, v15
.LBB40_21:                              ;   in Loop: Header=BB40_3 Depth=1
	s_or_b64 exec, exec, s[28:29]
	v_mov_b32_e32 v15, 0
	s_waitcnt lgkmcnt(0)
	s_barrier
	s_and_saveexec_b64 s[28:29], s[6:7]
	s_cbranch_execz .LBB40_23
; %bb.22:                               ;   in Loop: Header=BB40_3 Depth=1
	ds_read_b32 v15, v39
.LBB40_23:                              ;   in Loop: Header=BB40_3 Depth=1
	s_or_b64 exec, exec, s[28:29]
	s_waitcnt lgkmcnt(0)
	v_add_u32_e32 v3, v15, v3
	ds_bpermute_b32 v74, v38, v3
	v_perm_b32 v16, v50, v50, s33
	s_add_i32 s36, s36, 8
	v_mov_b32_e32 v3, v49
	s_cmp_ge_u32 s36, s37
	s_waitcnt lgkmcnt(0)
	v_cndmask_b32_e64 v15, v74, v15, s[8:9]
	v_cndmask_b32_e64 v74, v15, 0, s[10:11]
	v_add_u32_e32 v75, v74, v0
	v_add_u32_e32 v0, v75, v1
	;; [unrolled: 1-line block ×3, first 2 shown]
	ds_write2_b64 v18, v[74:75], v[0:1] offset0:2 offset1:3
	s_waitcnt lgkmcnt(0)
	s_barrier
	ds_read_b32 v0, v52
	ds_read_b32 v1, v55
	;; [unrolled: 1-line block ×7, first 2 shown]
	s_waitcnt lgkmcnt(6)
	v_add_u32_e32 v59, v0, v53
	s_waitcnt lgkmcnt(5)
	v_add3_u32 v55, v57, v54, v1
	s_waitcnt lgkmcnt(4)
	v_add3_u32 v57, v60, v58, v2
	;; [unrolled: 2-line block ×6, first 2 shown]
	v_lshlrev_b32_e32 v60, 1, v59
	v_lshlrev_b32_e32 v61, 1, v55
	v_lshlrev_b32_e32 v62, 1, v57
	v_lshlrev_b32_e32 v64, 1, v15
	v_lshlrev_b32_e32 v65, 1, v52
	v_lshlrev_b32_e32 v66, 1, v53
	v_lshlrev_b32_e32 v67, 1, v54
	s_cbranch_scc0 .LBB40_2
; %bb.24:
                                        ; implicit-def: $vgpr0
                                        ; implicit-def: $vgpr69
                                        ; implicit-def: $vgpr68
                                        ; implicit-def: $vgpr49
                                        ; implicit-def: $vgpr58
                                        ; implicit-def: $vgpr2
                                        ; implicit-def: $vgpr1
                                        ; implicit-def: $vgpr50
                                        ; implicit-def: $sgpr35
.LBB40_25:
	s_barrier
	ds_write_b16 v60, v3
	ds_write_b16 v61, v51
	;; [unrolled: 1-line block ×7, first 2 shown]
	s_waitcnt lgkmcnt(0)
	s_barrier
	ds_read_b96 v[0:2], v17
	ds_read_u16 v3, v17 offset:12
	v_lshrrev_b32_e32 v6, 8, v16
	v_add_u32_e32 v38, 2, v5
	v_add_u32_e32 v14, 4, v5
	;; [unrolled: 1-line block ×3, first 2 shown]
	s_waitcnt lgkmcnt(0)
	s_barrier
	ds_write_b8 v59, v16
	ds_write_b8 v55, v6
	ds_write_b8_d16_hi v57, v16
	v_lshrrev_b32_e32 v6, 24, v16
	s_mov_b64 s[0:1], 0
	ds_write_b8 v15, v6
	ds_write_b8 v52, v44
	;; [unrolled: 1-line block ×4, first 2 shown]
	s_waitcnt lgkmcnt(0)
	s_barrier
	s_branch .LBB40_27
.LBB40_26:
	s_mov_b64 s[0:1], -1
                                        ; implicit-def: $vgpr3
                                        ; implicit-def: $vgpr2
                                        ; implicit-def: $vgpr13
                                        ; implicit-def: $vgpr14
                                        ; implicit-def: $vgpr38
.LBB40_27:
	v_add_co_u32_e32 v8, vcc, s30, v17
	v_addc_co_u32_e32 v9, vcc, 0, v37, vcc
	v_add_co_u32_e32 v6, vcc, s34, v5
	v_addc_co_u32_e32 v7, vcc, 0, v36, vcc
	s_and_b64 vcc, exec, s[0:1]
	s_cbranch_vccz .LBB40_69
; %bb.28:
	; wave barrier
	ds_read_u16 v41, v33
	ds_read_u16 v40, v33 offset:128
	ds_read_u16 v39, v33 offset:256
	;; [unrolled: 1-line block ×6, first 2 shown]
	s_waitcnt lgkmcnt(0)
	s_barrier
	ds_write_b8 v32, v10
	ds_write_b8 v32, v34 offset:1
	ds_write_b8 v32, v35 offset:2
	;; [unrolled: 1-line block ×5, first 2 shown]
	s_waitcnt vmcnt(0)
	ds_write_b8 v32, v28 offset:6
	; wave barrier
	ds_read_u8 v11, v31
	ds_read_u8 v27, v31 offset:64
	ds_read_u8 v28, v31 offset:128
	;; [unrolled: 1-line block ×6, first 2 shown]
	s_waitcnt lgkmcnt(0)
	s_barrier
	s_load_dword s0, s[4:5], 0x24
	v_mov_b32_e32 v10, 2
	s_waitcnt lgkmcnt(0)
	s_lshr_b32 s1, s0, 16
	s_and_b32 s0, s0, 0xffff
	v_mad_u32_u24 v0, v30, s1, v29
	v_mad_u64_u32 v[0:1], s[0:1], v0, s0, v[4:5]
	s_mov_b32 s0, 0
	s_mov_b32 s1, s0
	;; [unrolled: 1-line block ×4, first 2 shown]
	v_lshrrev_b32_e32 v12, 6, v0
	v_pk_mov_b32 v[0:1], s[0:1], s[0:1] op_sel:[0,1]
	v_pk_mov_b32 v[2:3], s[2:3], s[2:3] op_sel:[0,1]
	ds_write2_b64 v18, v[0:1], v[2:3] offset0:2 offset1:3
	v_and_b32_e32 v1, 1, v41
	v_add_co_u32_e32 v2, vcc, -1, v1
	v_addc_co_u32_e64 v3, s[0:1], 0, -1, vcc
	v_cmp_ne_u32_e32 vcc, 0, v1
	v_lshlrev_b16_sdwa v0, v10, v41 dst_sel:DWORD dst_unused:UNUSED_PAD src0_sel:DWORD src1_sel:BYTE_0
	v_xor_b32_e32 v1, vcc_hi, v3
	v_add_lshl_u32 v29, v12, v0, 2
	v_mov_b32_e32 v0, 0
	v_and_b32_e32 v3, exec_hi, v1
	v_lshlrev_b32_e32 v1, 30, v41
	v_xor_b32_e32 v2, vcc_lo, v2
	v_cmp_gt_i64_e32 vcc, 0, v[0:1]
	v_not_b32_e32 v1, v1
	v_ashrrev_i32_e32 v1, 31, v1
	v_and_b32_e32 v2, exec_lo, v2
	v_xor_b32_e32 v13, vcc_hi, v1
	v_xor_b32_e32 v1, vcc_lo, v1
	v_and_b32_e32 v2, v2, v1
	v_lshlrev_b32_e32 v1, 29, v41
	v_cmp_gt_i64_e32 vcc, 0, v[0:1]
	v_not_b32_e32 v1, v1
	v_ashrrev_i32_e32 v1, 31, v1
	v_and_b32_e32 v3, v3, v13
	v_xor_b32_e32 v13, vcc_hi, v1
	v_xor_b32_e32 v1, vcc_lo, v1
	v_and_b32_e32 v2, v2, v1
	v_lshlrev_b32_e32 v1, 28, v41
	v_cmp_gt_i64_e32 vcc, 0, v[0:1]
	v_not_b32_e32 v1, v1
	v_ashrrev_i32_e32 v1, 31, v1
	v_and_b32_e32 v3, v3, v13
	;; [unrolled: 8-line block ×6, first 2 shown]
	v_xor_b32_e32 v13, vcc_hi, v1
	v_xor_b32_e32 v1, vcc_lo, v1
	v_and_b32_e32 v2, v2, v1
	v_and_b32_e32 v3, v3, v13
	v_mbcnt_lo_u32_b32 v1, v2, 0
	v_mbcnt_hi_u32_b32 v30, v3, v1
	v_cmp_eq_u32_e32 vcc, 0, v30
	v_cmp_ne_u64_e64 s[0:1], 0, v[2:3]
	s_and_b64 s[2:3], s[0:1], vcc
	s_waitcnt lgkmcnt(0)
	s_barrier
	s_waitcnt lgkmcnt(0)
	; wave barrier
	s_and_saveexec_b64 s[0:1], s[2:3]
	s_cbranch_execz .LBB40_30
; %bb.29:
	v_bcnt_u32_b32 v1, v2, 0
	v_bcnt_u32_b32 v1, v3, v1
	ds_write_b32 v29, v1 offset:16
.LBB40_30:
	s_or_b64 exec, exec, s[0:1]
	v_lshlrev_b16_sdwa v1, v10, v40 dst_sel:DWORD dst_unused:UNUSED_PAD src0_sel:DWORD src1_sel:BYTE_0
	v_add_lshl_u32 v42, v12, v1, 2
	v_and_b32_e32 v1, 1, v40
	v_add_co_u32_e32 v2, vcc, -1, v1
	v_addc_co_u32_e64 v3, s[0:1], 0, -1, vcc
	v_cmp_ne_u32_e32 vcc, 0, v1
	v_xor_b32_e32 v1, vcc_hi, v3
	v_and_b32_e32 v3, exec_hi, v1
	v_lshlrev_b32_e32 v1, 30, v40
	v_xor_b32_e32 v2, vcc_lo, v2
	v_cmp_gt_i64_e32 vcc, 0, v[0:1]
	v_not_b32_e32 v1, v1
	v_ashrrev_i32_e32 v1, 31, v1
	v_and_b32_e32 v2, exec_lo, v2
	v_xor_b32_e32 v10, vcc_hi, v1
	v_xor_b32_e32 v1, vcc_lo, v1
	v_and_b32_e32 v2, v2, v1
	v_lshlrev_b32_e32 v1, 29, v40
	v_cmp_gt_i64_e32 vcc, 0, v[0:1]
	v_not_b32_e32 v1, v1
	v_ashrrev_i32_e32 v1, 31, v1
	v_and_b32_e32 v3, v3, v10
	v_xor_b32_e32 v10, vcc_hi, v1
	v_xor_b32_e32 v1, vcc_lo, v1
	v_and_b32_e32 v2, v2, v1
	v_lshlrev_b32_e32 v1, 28, v40
	v_cmp_gt_i64_e32 vcc, 0, v[0:1]
	v_not_b32_e32 v1, v1
	v_ashrrev_i32_e32 v1, 31, v1
	v_and_b32_e32 v3, v3, v10
	;; [unrolled: 8-line block ×5, first 2 shown]
	v_xor_b32_e32 v10, vcc_hi, v1
	v_xor_b32_e32 v1, vcc_lo, v1
	v_and_b32_e32 v2, v2, v1
	v_lshlrev_b32_e32 v1, 24, v40
	v_cmp_gt_i64_e32 vcc, 0, v[0:1]
	v_not_b32_e32 v0, v1
	v_ashrrev_i32_e32 v0, 31, v0
	v_xor_b32_e32 v1, vcc_hi, v0
	v_xor_b32_e32 v0, vcc_lo, v0
	; wave barrier
	ds_read_b32 v35, v42 offset:16
	v_and_b32_e32 v3, v3, v10
	v_and_b32_e32 v0, v2, v0
	v_and_b32_e32 v1, v3, v1
	v_mbcnt_lo_u32_b32 v2, v0, 0
	v_mbcnt_hi_u32_b32 v43, v1, v2
	v_cmp_eq_u32_e32 vcc, 0, v43
	v_cmp_ne_u64_e64 s[0:1], 0, v[0:1]
	s_and_b64 s[2:3], s[0:1], vcc
	; wave barrier
	s_and_saveexec_b64 s[0:1], s[2:3]
	s_cbranch_execz .LBB40_32
; %bb.31:
	v_bcnt_u32_b32 v0, v0, 0
	v_bcnt_u32_b32 v0, v1, v0
	s_waitcnt lgkmcnt(0)
	v_add_u32_e32 v0, v35, v0
	ds_write_b32 v42, v0 offset:16
.LBB40_32:
	s_or_b64 exec, exec, s[0:1]
	v_and_b32_e32 v1, 1, v39
	v_add_co_u32_e32 v2, vcc, -1, v1
	v_mov_b32_e32 v10, 2
	v_addc_co_u32_e64 v3, s[0:1], 0, -1, vcc
	v_cmp_ne_u32_e32 vcc, 0, v1
	v_lshlrev_b16_sdwa v0, v10, v39 dst_sel:DWORD dst_unused:UNUSED_PAD src0_sel:DWORD src1_sel:BYTE_0
	v_xor_b32_e32 v1, vcc_hi, v3
	v_add_lshl_u32 v45, v12, v0, 2
	v_mov_b32_e32 v0, 0
	v_and_b32_e32 v3, exec_hi, v1
	v_lshlrev_b32_e32 v1, 30, v39
	v_xor_b32_e32 v2, vcc_lo, v2
	v_cmp_gt_i64_e32 vcc, 0, v[0:1]
	v_not_b32_e32 v1, v1
	v_ashrrev_i32_e32 v1, 31, v1
	v_and_b32_e32 v2, exec_lo, v2
	v_xor_b32_e32 v13, vcc_hi, v1
	v_xor_b32_e32 v1, vcc_lo, v1
	v_and_b32_e32 v2, v2, v1
	v_lshlrev_b32_e32 v1, 29, v39
	v_cmp_gt_i64_e32 vcc, 0, v[0:1]
	v_not_b32_e32 v1, v1
	v_ashrrev_i32_e32 v1, 31, v1
	v_and_b32_e32 v3, v3, v13
	v_xor_b32_e32 v13, vcc_hi, v1
	v_xor_b32_e32 v1, vcc_lo, v1
	v_and_b32_e32 v2, v2, v1
	v_lshlrev_b32_e32 v1, 28, v39
	v_cmp_gt_i64_e32 vcc, 0, v[0:1]
	v_not_b32_e32 v1, v1
	v_ashrrev_i32_e32 v1, 31, v1
	v_and_b32_e32 v3, v3, v13
	;; [unrolled: 8-line block ×6, first 2 shown]
	v_xor_b32_e32 v13, vcc_hi, v1
	v_xor_b32_e32 v1, vcc_lo, v1
	; wave barrier
	ds_read_b32 v44, v45 offset:16
	v_and_b32_e32 v2, v2, v1
	v_and_b32_e32 v3, v3, v13
	v_mbcnt_lo_u32_b32 v1, v2, 0
	v_mbcnt_hi_u32_b32 v46, v3, v1
	v_cmp_eq_u32_e32 vcc, 0, v46
	v_cmp_ne_u64_e64 s[0:1], 0, v[2:3]
	s_and_b64 s[2:3], s[0:1], vcc
	; wave barrier
	s_and_saveexec_b64 s[0:1], s[2:3]
	s_cbranch_execz .LBB40_34
; %bb.33:
	v_bcnt_u32_b32 v1, v2, 0
	v_bcnt_u32_b32 v1, v3, v1
	s_waitcnt lgkmcnt(0)
	v_add_u32_e32 v1, v44, v1
	ds_write_b32 v45, v1 offset:16
.LBB40_34:
	s_or_b64 exec, exec, s[0:1]
	v_lshlrev_b16_sdwa v1, v10, v38 dst_sel:DWORD dst_unused:UNUSED_PAD src0_sel:DWORD src1_sel:BYTE_0
	v_add_lshl_u32 v48, v12, v1, 2
	v_and_b32_e32 v1, 1, v38
	v_add_co_u32_e32 v2, vcc, -1, v1
	v_addc_co_u32_e64 v3, s[0:1], 0, -1, vcc
	v_cmp_ne_u32_e32 vcc, 0, v1
	v_xor_b32_e32 v1, vcc_hi, v3
	v_and_b32_e32 v3, exec_hi, v1
	v_lshlrev_b32_e32 v1, 30, v38
	v_xor_b32_e32 v2, vcc_lo, v2
	v_cmp_gt_i64_e32 vcc, 0, v[0:1]
	v_not_b32_e32 v1, v1
	v_ashrrev_i32_e32 v1, 31, v1
	v_and_b32_e32 v2, exec_lo, v2
	v_xor_b32_e32 v10, vcc_hi, v1
	v_xor_b32_e32 v1, vcc_lo, v1
	v_and_b32_e32 v2, v2, v1
	v_lshlrev_b32_e32 v1, 29, v38
	v_cmp_gt_i64_e32 vcc, 0, v[0:1]
	v_not_b32_e32 v1, v1
	v_ashrrev_i32_e32 v1, 31, v1
	v_and_b32_e32 v3, v3, v10
	v_xor_b32_e32 v10, vcc_hi, v1
	v_xor_b32_e32 v1, vcc_lo, v1
	v_and_b32_e32 v2, v2, v1
	v_lshlrev_b32_e32 v1, 28, v38
	v_cmp_gt_i64_e32 vcc, 0, v[0:1]
	v_not_b32_e32 v1, v1
	v_ashrrev_i32_e32 v1, 31, v1
	v_and_b32_e32 v3, v3, v10
	;; [unrolled: 8-line block ×5, first 2 shown]
	v_xor_b32_e32 v10, vcc_hi, v1
	v_xor_b32_e32 v1, vcc_lo, v1
	v_and_b32_e32 v2, v2, v1
	v_lshlrev_b32_e32 v1, 24, v38
	v_cmp_gt_i64_e32 vcc, 0, v[0:1]
	v_not_b32_e32 v0, v1
	v_ashrrev_i32_e32 v0, 31, v0
	v_xor_b32_e32 v1, vcc_hi, v0
	v_xor_b32_e32 v0, vcc_lo, v0
	; wave barrier
	ds_read_b32 v47, v48 offset:16
	v_and_b32_e32 v3, v3, v10
	v_and_b32_e32 v0, v2, v0
	v_and_b32_e32 v1, v3, v1
	v_mbcnt_lo_u32_b32 v2, v0, 0
	v_mbcnt_hi_u32_b32 v49, v1, v2
	v_cmp_eq_u32_e32 vcc, 0, v49
	v_cmp_ne_u64_e64 s[0:1], 0, v[0:1]
	s_and_b64 s[2:3], s[0:1], vcc
	; wave barrier
	s_and_saveexec_b64 s[0:1], s[2:3]
	s_cbranch_execz .LBB40_36
; %bb.35:
	v_bcnt_u32_b32 v0, v0, 0
	v_bcnt_u32_b32 v0, v1, v0
	s_waitcnt lgkmcnt(0)
	v_add_u32_e32 v0, v47, v0
	ds_write_b32 v48, v0 offset:16
.LBB40_36:
	s_or_b64 exec, exec, s[0:1]
	v_and_b32_e32 v1, 1, v37
	v_add_co_u32_e32 v2, vcc, -1, v1
	v_mov_b32_e32 v13, 2
	v_addc_co_u32_e64 v3, s[0:1], 0, -1, vcc
	v_cmp_ne_u32_e32 vcc, 0, v1
	v_lshlrev_b16_sdwa v0, v13, v37 dst_sel:DWORD dst_unused:UNUSED_PAD src0_sel:DWORD src1_sel:BYTE_0
	v_xor_b32_e32 v1, vcc_hi, v3
	v_add_lshl_u32 v51, v12, v0, 2
	v_mov_b32_e32 v0, 0
	v_and_b32_e32 v3, exec_hi, v1
	v_lshlrev_b32_e32 v1, 30, v37
	v_xor_b32_e32 v2, vcc_lo, v2
	v_cmp_gt_i64_e32 vcc, 0, v[0:1]
	v_not_b32_e32 v1, v1
	v_ashrrev_i32_e32 v1, 31, v1
	v_and_b32_e32 v2, exec_lo, v2
	v_xor_b32_e32 v10, vcc_hi, v1
	v_xor_b32_e32 v1, vcc_lo, v1
	v_and_b32_e32 v2, v2, v1
	v_lshlrev_b32_e32 v1, 29, v37
	v_cmp_gt_i64_e32 vcc, 0, v[0:1]
	v_not_b32_e32 v1, v1
	v_ashrrev_i32_e32 v1, 31, v1
	v_and_b32_e32 v3, v3, v10
	v_xor_b32_e32 v10, vcc_hi, v1
	v_xor_b32_e32 v1, vcc_lo, v1
	v_and_b32_e32 v2, v2, v1
	v_lshlrev_b32_e32 v1, 28, v37
	v_cmp_gt_i64_e32 vcc, 0, v[0:1]
	v_not_b32_e32 v1, v1
	v_ashrrev_i32_e32 v1, 31, v1
	v_and_b32_e32 v3, v3, v10
	;; [unrolled: 8-line block ×6, first 2 shown]
	v_xor_b32_e32 v10, vcc_hi, v1
	v_xor_b32_e32 v1, vcc_lo, v1
	; wave barrier
	ds_read_b32 v50, v51 offset:16
	v_and_b32_e32 v2, v2, v1
	v_and_b32_e32 v3, v3, v10
	v_mbcnt_lo_u32_b32 v1, v2, 0
	v_mbcnt_hi_u32_b32 v52, v3, v1
	v_cmp_eq_u32_e32 vcc, 0, v52
	v_cmp_ne_u64_e64 s[0:1], 0, v[2:3]
	s_and_b64 s[2:3], s[0:1], vcc
	; wave barrier
	s_and_saveexec_b64 s[0:1], s[2:3]
	s_cbranch_execz .LBB40_38
; %bb.37:
	v_bcnt_u32_b32 v1, v2, 0
	v_bcnt_u32_b32 v1, v3, v1
	s_waitcnt lgkmcnt(0)
	v_add_u32_e32 v1, v50, v1
	ds_write_b32 v51, v1 offset:16
.LBB40_38:
	s_or_b64 exec, exec, s[0:1]
	v_lshlrev_b16_sdwa v1, v13, v36 dst_sel:DWORD dst_unused:UNUSED_PAD src0_sel:DWORD src1_sel:BYTE_0
	v_add_lshl_u32 v54, v12, v1, 2
	v_and_b32_e32 v1, 1, v36
	v_add_co_u32_e32 v2, vcc, -1, v1
	v_addc_co_u32_e64 v3, s[0:1], 0, -1, vcc
	v_cmp_ne_u32_e32 vcc, 0, v1
	v_xor_b32_e32 v1, vcc_hi, v3
	v_and_b32_e32 v3, exec_hi, v1
	v_lshlrev_b32_e32 v1, 30, v36
	v_xor_b32_e32 v2, vcc_lo, v2
	v_cmp_gt_i64_e32 vcc, 0, v[0:1]
	v_not_b32_e32 v1, v1
	v_ashrrev_i32_e32 v1, 31, v1
	v_and_b32_e32 v2, exec_lo, v2
	v_xor_b32_e32 v13, vcc_hi, v1
	v_xor_b32_e32 v1, vcc_lo, v1
	v_and_b32_e32 v2, v2, v1
	v_lshlrev_b32_e32 v1, 29, v36
	v_cmp_gt_i64_e32 vcc, 0, v[0:1]
	v_not_b32_e32 v1, v1
	v_ashrrev_i32_e32 v1, 31, v1
	v_and_b32_e32 v3, v3, v13
	v_xor_b32_e32 v13, vcc_hi, v1
	v_xor_b32_e32 v1, vcc_lo, v1
	v_and_b32_e32 v2, v2, v1
	v_lshlrev_b32_e32 v1, 28, v36
	v_cmp_gt_i64_e32 vcc, 0, v[0:1]
	v_not_b32_e32 v1, v1
	v_ashrrev_i32_e32 v1, 31, v1
	v_and_b32_e32 v3, v3, v13
	;; [unrolled: 8-line block ×5, first 2 shown]
	v_xor_b32_e32 v13, vcc_hi, v1
	v_xor_b32_e32 v1, vcc_lo, v1
	v_and_b32_e32 v2, v2, v1
	v_lshlrev_b32_e32 v1, 24, v36
	v_cmp_gt_i64_e32 vcc, 0, v[0:1]
	v_not_b32_e32 v0, v1
	v_ashrrev_i32_e32 v0, 31, v0
	v_xor_b32_e32 v1, vcc_hi, v0
	v_xor_b32_e32 v0, vcc_lo, v0
	; wave barrier
	ds_read_b32 v53, v54 offset:16
	v_and_b32_e32 v3, v3, v13
	v_and_b32_e32 v0, v2, v0
	;; [unrolled: 1-line block ×3, first 2 shown]
	v_mbcnt_lo_u32_b32 v2, v0, 0
	v_mbcnt_hi_u32_b32 v55, v1, v2
	v_cmp_eq_u32_e32 vcc, 0, v55
	v_cmp_ne_u64_e64 s[0:1], 0, v[0:1]
	v_and_b32_e32 v10, 0x3c0, v4
	s_and_b64 s[2:3], s[0:1], vcc
	; wave barrier
	s_and_saveexec_b64 s[0:1], s[2:3]
	s_cbranch_execz .LBB40_40
; %bb.39:
	v_bcnt_u32_b32 v0, v0, 0
	v_bcnt_u32_b32 v0, v1, v0
	s_waitcnt lgkmcnt(0)
	v_add_u32_e32 v0, v53, v0
	ds_write_b32 v54, v0 offset:16
.LBB40_40:
	s_or_b64 exec, exec, s[0:1]
	v_and_b32_e32 v1, 1, v16
	v_add_co_u32_e32 v2, vcc, -1, v1
	v_mov_b32_e32 v0, 2
	v_addc_co_u32_e64 v3, s[0:1], 0, -1, vcc
	v_cmp_ne_u32_e32 vcc, 0, v1
	v_lshlrev_b16_sdwa v0, v0, v16 dst_sel:DWORD dst_unused:UNUSED_PAD src0_sel:DWORD src1_sel:BYTE_0
	v_xor_b32_e32 v1, vcc_hi, v3
	v_add_lshl_u32 v57, v12, v0, 2
	v_mov_b32_e32 v0, 0
	v_and_b32_e32 v3, exec_hi, v1
	v_lshlrev_b32_e32 v1, 30, v16
	v_xor_b32_e32 v2, vcc_lo, v2
	v_cmp_gt_i64_e32 vcc, 0, v[0:1]
	v_not_b32_e32 v1, v1
	v_ashrrev_i32_e32 v1, 31, v1
	v_and_b32_e32 v2, exec_lo, v2
	v_xor_b32_e32 v14, vcc_hi, v1
	v_xor_b32_e32 v1, vcc_lo, v1
	v_and_b32_e32 v2, v2, v1
	v_lshlrev_b32_e32 v1, 29, v16
	v_cmp_gt_i64_e32 vcc, 0, v[0:1]
	v_not_b32_e32 v1, v1
	v_ashrrev_i32_e32 v1, 31, v1
	v_and_b32_e32 v3, v3, v14
	v_xor_b32_e32 v14, vcc_hi, v1
	v_xor_b32_e32 v1, vcc_lo, v1
	v_and_b32_e32 v2, v2, v1
	v_lshlrev_b32_e32 v1, 28, v16
	v_cmp_gt_i64_e32 vcc, 0, v[0:1]
	v_not_b32_e32 v1, v1
	v_ashrrev_i32_e32 v1, 31, v1
	v_and_b32_e32 v3, v3, v14
	v_xor_b32_e32 v14, vcc_hi, v1
	v_xor_b32_e32 v1, vcc_lo, v1
	v_and_b32_e32 v2, v2, v1
	v_lshlrev_b32_e32 v1, 27, v16
	v_cmp_gt_i64_e32 vcc, 0, v[0:1]
	v_not_b32_e32 v1, v1
	v_ashrrev_i32_e32 v1, 31, v1
	v_and_b32_e32 v3, v3, v14
	v_xor_b32_e32 v14, vcc_hi, v1
	v_xor_b32_e32 v1, vcc_lo, v1
	v_and_b32_e32 v2, v2, v1
	v_lshlrev_b32_e32 v1, 26, v16
	v_cmp_gt_i64_e32 vcc, 0, v[0:1]
	v_not_b32_e32 v1, v1
	v_ashrrev_i32_e32 v1, 31, v1
	v_and_b32_e32 v3, v3, v14
	v_xor_b32_e32 v14, vcc_hi, v1
	v_xor_b32_e32 v1, vcc_lo, v1
	v_and_b32_e32 v2, v2, v1
	v_lshlrev_b32_e32 v1, 25, v16
	v_cmp_gt_i64_e32 vcc, 0, v[0:1]
	v_not_b32_e32 v1, v1
	v_ashrrev_i32_e32 v1, 31, v1
	v_and_b32_e32 v3, v3, v14
	v_xor_b32_e32 v14, vcc_hi, v1
	v_xor_b32_e32 v1, vcc_lo, v1
	v_and_b32_e32 v2, v2, v1
	v_lshlrev_b32_e32 v1, 24, v16
	v_cmp_gt_i64_e32 vcc, 0, v[0:1]
	v_not_b32_e32 v0, v1
	v_ashrrev_i32_e32 v0, 31, v0
	v_xor_b32_e32 v1, vcc_hi, v0
	v_xor_b32_e32 v0, vcc_lo, v0
	; wave barrier
	ds_read_b32 v56, v57 offset:16
	v_and_b32_e32 v3, v3, v14
	v_and_b32_e32 v0, v2, v0
	;; [unrolled: 1-line block ×3, first 2 shown]
	v_mbcnt_lo_u32_b32 v2, v0, 0
	v_mbcnt_hi_u32_b32 v58, v1, v2
	v_cmp_eq_u32_e32 vcc, 0, v58
	v_cmp_ne_u64_e64 s[0:1], 0, v[0:1]
	v_min_u32_e32 v13, 0xc0, v10
	s_and_b64 s[2:3], s[0:1], vcc
	; wave barrier
	s_and_saveexec_b64 s[0:1], s[2:3]
	s_cbranch_execz .LBB40_42
; %bb.41:
	v_bcnt_u32_b32 v0, v0, 0
	v_bcnt_u32_b32 v0, v1, v0
	s_waitcnt lgkmcnt(0)
	v_add_u32_e32 v0, v56, v0
	ds_write_b32 v57, v0 offset:16
.LBB40_42:
	s_or_b64 exec, exec, s[0:1]
	; wave barrier
	s_waitcnt lgkmcnt(0)
	s_barrier
	ds_read2_b64 v[0:3], v18 offset0:2 offset1:3
	v_or_b32_e32 v13, 63, v13
	v_cmp_eq_u32_e32 vcc, v13, v4
	v_cmp_eq_u32_e64 s[6:7], 0, v25
	v_cmp_lt_u32_e64 s[8:9], 1, v25
	s_waitcnt lgkmcnt(0)
	v_add_u32_e32 v13, v1, v0
	v_add3_u32 v3, v13, v2, v3
	v_cmp_lt_u32_e64 s[12:13], 3, v25
	v_cmp_lt_u32_e64 s[14:15], 7, v25
	v_mov_b32_dpp v13, v3 row_shr:1 row_mask:0xf bank_mask:0xf
	v_cndmask_b32_e64 v13, v13, 0, s[6:7]
	v_add_u32_e32 v3, v13, v3
	v_bfe_i32 v14, v20, 4, 1
	v_cmp_lt_u32_e64 s[16:17], 31, v20
	v_mov_b32_dpp v13, v3 row_shr:2 row_mask:0xf bank_mask:0xf
	v_cndmask_b32_e64 v13, 0, v13, s[8:9]
	v_add_u32_e32 v3, v3, v13
	v_cmp_eq_u32_e64 s[0:1], 0, v26
	s_nop 0
	v_mov_b32_dpp v13, v3 row_shr:4 row_mask:0xf bank_mask:0xf
	v_cndmask_b32_e64 v13, 0, v13, s[12:13]
	v_add_u32_e32 v3, v3, v13
	s_nop 1
	v_mov_b32_dpp v13, v3 row_shr:8 row_mask:0xf bank_mask:0xf
	v_cndmask_b32_e64 v13, 0, v13, s[14:15]
	v_add_u32_e32 v3, v3, v13
	s_nop 1
	v_mov_b32_dpp v13, v3 row_bcast:15 row_mask:0xf bank_mask:0xf
	v_and_b32_e32 v13, v14, v13
	v_add_u32_e32 v3, v3, v13
	s_nop 1
	v_mov_b32_dpp v13, v3 row_bcast:31 row_mask:0xf bank_mask:0xf
	v_cndmask_b32_e64 v13, 0, v13, s[16:17]
	v_add_u32_e32 v3, v3, v13
	s_and_saveexec_b64 s[2:3], vcc
	s_cbranch_execz .LBB40_44
; %bb.43:
	ds_write_b32 v19, v3
.LBB40_44:
	s_or_b64 exec, exec, s[2:3]
	v_cmp_gt_u32_e64 s[10:11], 4, v4
	v_cmp_eq_u32_e64 s[4:5], 0, v24
	v_cmp_lt_u32_e64 s[2:3], 1, v24
	v_add_u32_e32 v13, v18, v23
	s_waitcnt lgkmcnt(0)
	s_barrier
	s_and_saveexec_b64 s[18:19], s[10:11]
	s_cbranch_execz .LBB40_46
; %bb.45:
	ds_read_b32 v14, v13
	s_waitcnt lgkmcnt(0)
	s_nop 0
	v_mov_b32_dpp v15, v14 row_shr:1 row_mask:0xf bank_mask:0xf
	v_cndmask_b32_e64 v15, v15, 0, s[4:5]
	v_add_u32_e32 v14, v15, v14
	s_nop 1
	v_mov_b32_dpp v15, v14 row_shr:2 row_mask:0xf bank_mask:0xf
	v_cndmask_b32_e64 v15, 0, v15, s[2:3]
	v_add_u32_e32 v14, v14, v15
	ds_write_b32 v13, v14
.LBB40_46:
	s_or_b64 exec, exec, s[18:19]
	v_mul_u32_u24_e32 v23, 7, v10
	v_cmp_lt_u32_e64 s[18:19], 63, v4
	v_add_u32_e32 v14, -4, v19
	v_mov_b32_e32 v10, 0
	v_mov_b32_e32 v24, 0
	s_waitcnt lgkmcnt(0)
	s_barrier
	s_and_saveexec_b64 s[20:21], s[18:19]
	s_cbranch_execz .LBB40_48
; %bb.47:
	ds_read_b32 v24, v14
.LBB40_48:
	s_or_b64 exec, exec, s[20:21]
	v_cmp_lt_i32_e64 s[20:21], v21, v22
	v_cndmask_b32_e64 v15, v21, v20, s[20:21]
	v_lshlrev_b32_e32 v15, 2, v15
	s_waitcnt lgkmcnt(0)
	v_add_u32_e32 v3, v24, v3
	ds_bpermute_b32 v3, v15, v3
	v_cmp_eq_u32_e64 s[20:21], 0, v20
	v_cmp_eq_u32_e64 s[22:23], 0, v4
	v_add_u32_e32 v59, v20, v23
	s_mov_b32 s24, 0
	s_waitcnt lgkmcnt(0)
	v_cndmask_b32_e64 v3, v3, v24, s[20:21]
	v_cndmask_b32_e64 v20, v3, 0, s[22:23]
	v_add_u32_e32 v21, v20, v0
	v_add_u32_e32 v0, v21, v1
	;; [unrolled: 1-line block ×3, first 2 shown]
	ds_write2_b64 v18, v[20:21], v[0:1] offset0:2 offset1:3
	s_waitcnt lgkmcnt(0)
	s_barrier
	ds_read_b32 v0, v29 offset:16
	ds_read_b32 v1, v42 offset:16
	;; [unrolled: 1-line block ×7, first 2 shown]
	s_waitcnt lgkmcnt(6)
	v_add_u32_e32 v0, v0, v30
	s_waitcnt lgkmcnt(5)
	v_add3_u32 v1, v43, v35, v1
	v_lshlrev_b32_e32 v23, 1, v0
	s_waitcnt lgkmcnt(4)
	v_add3_u32 v2, v46, v44, v2
	s_waitcnt lgkmcnt(0)
	s_barrier
	ds_write_b16 v23, v41
	v_lshlrev_b32_e32 v23, 1, v1
	v_add3_u32 v3, v49, v47, v3
	ds_write_b16 v23, v40
	v_lshlrev_b32_e32 v23, 1, v2
	v_add3_u32 v4, v52, v50, v4
	;; [unrolled: 3-line block ×4, first 2 shown]
	ds_write_b16 v23, v37
	v_lshlrev_b32_e32 v23, 1, v20
	v_lshlrev_b32_e32 v22, 1, v59
	ds_write_b16 v23, v36
	v_lshlrev_b32_e32 v23, 1, v21
	s_mov_b32 s25, s24
	s_mov_b32 s26, s24
	;; [unrolled: 1-line block ×3, first 2 shown]
	ds_write_b16 v23, v16
	s_waitcnt lgkmcnt(0)
	s_barrier
	ds_read_u16 v37, v22
	ds_read_u16 v36, v22 offset:128
	ds_read_u16 v35, v22 offset:256
	;; [unrolled: 1-line block ×6, first 2 shown]
	s_waitcnt lgkmcnt(0)
	s_barrier
	ds_write_b8 v0, v11
	ds_write_b8 v1, v27
	;; [unrolled: 1-line block ×7, first 2 shown]
	v_pk_mov_b32 v[0:1], s[24:25], s[24:25] op_sel:[0,1]
	v_pk_mov_b32 v[2:3], s[26:27], s[26:27] op_sel:[0,1]
	v_mov_b32_e32 v28, 2
	s_waitcnt lgkmcnt(0)
	s_barrier
	ds_read_u8 v4, v59
	ds_read_u8 v16, v59 offset:64
	ds_read_u8 v20, v59 offset:128
	;; [unrolled: 1-line block ×6, first 2 shown]
	s_waitcnt lgkmcnt(0)
	s_barrier
	ds_write2_b64 v18, v[0:1], v[2:3] offset0:2 offset1:3
	v_lshlrev_b16_sdwa v0, v28, v37 dst_sel:DWORD dst_unused:UNUSED_PAD src0_sel:DWORD src1_sel:BYTE_1
	v_mov_b32_e32 v3, 1
	v_add_lshl_u32 v27, v12, v0, 2
	v_and_b32_sdwa v0, v37, v3 dst_sel:DWORD dst_unused:UNUSED_PAD src0_sel:BYTE_1 src1_sel:DWORD
	v_add_co_u32_e64 v1, s[24:25], -1, v0
	v_addc_co_u32_e64 v2, s[24:25], 0, -1, s[24:25]
	v_cmp_ne_u32_e64 s[24:25], 0, v0
	v_xor_b32_e32 v0, s25, v2
	v_mov_b32_e32 v2, 30
	v_lshlrev_b32_sdwa v11, v2, v37 dst_sel:DWORD dst_unused:UNUSED_PAD src0_sel:DWORD src1_sel:BYTE_1
	v_xor_b32_e32 v1, s24, v1
	v_cmp_gt_i64_e64 s[24:25], 0, v[10:11]
	v_not_b32_e32 v11, v11
	v_ashrrev_i32_e32 v11, 31, v11
	v_and_b32_e32 v0, exec_hi, v0
	v_xor_b32_e32 v31, s25, v11
	v_and_b32_e32 v1, exec_lo, v1
	v_xor_b32_e32 v11, s24, v11
	v_and_b32_e32 v0, v0, v31
	v_mov_b32_e32 v31, 29
	v_and_b32_e32 v1, v1, v11
	v_lshlrev_b32_sdwa v11, v31, v37 dst_sel:DWORD dst_unused:UNUSED_PAD src0_sel:DWORD src1_sel:BYTE_1
	v_cmp_gt_i64_e64 s[24:25], 0, v[10:11]
	v_not_b32_e32 v11, v11
	v_ashrrev_i32_e32 v11, 31, v11
	v_xor_b32_e32 v32, s25, v11
	v_xor_b32_e32 v11, s24, v11
	v_and_b32_e32 v0, v0, v32
	v_mov_b32_e32 v32, 28
	v_and_b32_e32 v1, v1, v11
	v_lshlrev_b32_sdwa v11, v32, v37 dst_sel:DWORD dst_unused:UNUSED_PAD src0_sel:DWORD src1_sel:BYTE_1
	v_cmp_gt_i64_e64 s[24:25], 0, v[10:11]
	v_not_b32_e32 v11, v11
	v_ashrrev_i32_e32 v11, 31, v11
	v_xor_b32_e32 v33, s25, v11
	v_xor_b32_e32 v11, s24, v11
	v_and_b32_e32 v0, v0, v33
	v_mov_b32_e32 v33, 27
	v_and_b32_e32 v1, v1, v11
	v_lshlrev_b32_sdwa v11, v33, v37 dst_sel:DWORD dst_unused:UNUSED_PAD src0_sel:DWORD src1_sel:BYTE_1
	v_cmp_gt_i64_e64 s[24:25], 0, v[10:11]
	v_not_b32_e32 v11, v11
	v_ashrrev_i32_e32 v11, 31, v11
	v_xor_b32_e32 v34, s25, v11
	v_xor_b32_e32 v11, s24, v11
	v_and_b32_e32 v0, v0, v34
	v_mov_b32_e32 v34, 26
	v_and_b32_e32 v1, v1, v11
	v_lshlrev_b32_sdwa v11, v34, v37 dst_sel:DWORD dst_unused:UNUSED_PAD src0_sel:DWORD src1_sel:BYTE_1
	v_cmp_gt_i64_e64 s[24:25], 0, v[10:11]
	v_not_b32_e32 v11, v11
	v_ashrrev_i32_e32 v11, 31, v11
	v_xor_b32_e32 v38, s25, v11
	v_xor_b32_e32 v11, s24, v11
	v_and_b32_e32 v0, v0, v38
	v_mov_b32_e32 v38, 25
	v_and_b32_e32 v1, v1, v11
	v_lshlrev_b32_sdwa v11, v38, v37 dst_sel:DWORD dst_unused:UNUSED_PAD src0_sel:DWORD src1_sel:BYTE_1
	v_cmp_gt_i64_e64 s[24:25], 0, v[10:11]
	v_not_b32_e32 v11, v11
	v_ashrrev_i32_e32 v11, 31, v11
	v_xor_b32_e32 v39, s25, v11
	v_xor_b32_e32 v11, s24, v11
	v_and_b32_e32 v0, v0, v39
	v_mov_b32_e32 v39, 24
	v_and_b32_e32 v40, v1, v11
	v_lshlrev_b32_sdwa v11, v39, v37 dst_sel:DWORD dst_unused:UNUSED_PAD src0_sel:DWORD src1_sel:BYTE_1
	v_not_b32_e32 v1, v11
	v_cmp_gt_i64_e64 s[24:25], 0, v[10:11]
	v_ashrrev_i32_e32 v1, 31, v1
	v_xor_b32_e32 v10, s25, v1
	v_xor_b32_e32 v11, s24, v1
	v_and_b32_e32 v1, v0, v10
	v_and_b32_e32 v0, v40, v11
	v_mbcnt_lo_u32_b32 v10, v0, 0
	v_mbcnt_hi_u32_b32 v10, v1, v10
	v_cmp_eq_u32_e64 s[24:25], 0, v10
	v_cmp_ne_u64_e64 s[26:27], 0, v[0:1]
	s_and_b64 s[26:27], s[26:27], s[24:25]
	s_waitcnt lgkmcnt(0)
	s_barrier
	s_waitcnt lgkmcnt(0)
	; wave barrier
	s_and_saveexec_b64 s[24:25], s[26:27]
	s_cbranch_execz .LBB40_50
; %bb.49:
	v_bcnt_u32_b32 v0, v0, 0
	v_bcnt_u32_b32 v0, v1, v0
	ds_write_b32 v27, v0 offset:16
.LBB40_50:
	s_or_b64 exec, exec, s[24:25]
	v_and_b32_sdwa v1, v36, v3 dst_sel:DWORD dst_unused:UNUSED_PAD src0_sel:BYTE_1 src1_sel:DWORD
	v_add_co_u32_e64 v3, s[24:25], -1, v1
	v_addc_co_u32_e64 v40, s[24:25], 0, -1, s[24:25]
	v_cmp_ne_u32_e64 s[24:25], 0, v1
	v_lshlrev_b16_sdwa v0, v28, v36 dst_sel:DWORD dst_unused:UNUSED_PAD src0_sel:DWORD src1_sel:BYTE_1
	v_xor_b32_e32 v1, s25, v40
	v_add_lshl_u32 v28, v12, v0, 2
	v_mov_b32_e32 v0, 0
	v_and_b32_e32 v40, exec_hi, v1
	v_lshlrev_b32_sdwa v1, v2, v36 dst_sel:DWORD dst_unused:UNUSED_PAD src0_sel:DWORD src1_sel:BYTE_1
	v_xor_b32_e32 v3, s24, v3
	v_cmp_gt_i64_e64 s[24:25], 0, v[0:1]
	v_not_b32_e32 v1, v1
	v_ashrrev_i32_e32 v1, 31, v1
	v_and_b32_e32 v3, exec_lo, v3
	v_xor_b32_e32 v2, s25, v1
	v_xor_b32_e32 v1, s24, v1
	v_and_b32_e32 v3, v3, v1
	v_lshlrev_b32_sdwa v1, v31, v36 dst_sel:DWORD dst_unused:UNUSED_PAD src0_sel:DWORD src1_sel:BYTE_1
	v_cmp_gt_i64_e64 s[24:25], 0, v[0:1]
	v_not_b32_e32 v1, v1
	v_ashrrev_i32_e32 v1, 31, v1
	v_xor_b32_e32 v31, s25, v1
	v_xor_b32_e32 v1, s24, v1
	v_and_b32_e32 v3, v3, v1
	v_lshlrev_b32_sdwa v1, v32, v36 dst_sel:DWORD dst_unused:UNUSED_PAD src0_sel:DWORD src1_sel:BYTE_1
	v_cmp_gt_i64_e64 s[24:25], 0, v[0:1]
	v_not_b32_e32 v1, v1
	v_and_b32_e32 v2, v40, v2
	v_ashrrev_i32_e32 v1, 31, v1
	v_and_b32_e32 v2, v2, v31
	v_xor_b32_e32 v31, s25, v1
	v_xor_b32_e32 v1, s24, v1
	v_and_b32_e32 v3, v3, v1
	v_lshlrev_b32_sdwa v1, v33, v36 dst_sel:DWORD dst_unused:UNUSED_PAD src0_sel:DWORD src1_sel:BYTE_1
	v_cmp_gt_i64_e64 s[24:25], 0, v[0:1]
	v_not_b32_e32 v1, v1
	v_ashrrev_i32_e32 v1, 31, v1
	v_and_b32_e32 v2, v2, v31
	v_xor_b32_e32 v31, s25, v1
	v_xor_b32_e32 v1, s24, v1
	v_and_b32_e32 v3, v3, v1
	v_lshlrev_b32_sdwa v1, v34, v36 dst_sel:DWORD dst_unused:UNUSED_PAD src0_sel:DWORD src1_sel:BYTE_1
	v_cmp_gt_i64_e64 s[24:25], 0, v[0:1]
	v_not_b32_e32 v1, v1
	v_ashrrev_i32_e32 v1, 31, v1
	v_and_b32_e32 v2, v2, v31
	v_xor_b32_e32 v31, s25, v1
	v_xor_b32_e32 v1, s24, v1
	v_and_b32_e32 v3, v3, v1
	v_lshlrev_b32_sdwa v1, v38, v36 dst_sel:DWORD dst_unused:UNUSED_PAD src0_sel:DWORD src1_sel:BYTE_1
	v_cmp_gt_i64_e64 s[24:25], 0, v[0:1]
	v_not_b32_e32 v1, v1
	v_ashrrev_i32_e32 v1, 31, v1
	v_and_b32_e32 v2, v2, v31
	v_xor_b32_e32 v31, s25, v1
	v_xor_b32_e32 v1, s24, v1
	v_and_b32_e32 v2, v2, v31
	v_and_b32_e32 v31, v3, v1
	v_lshlrev_b32_sdwa v1, v39, v36 dst_sel:DWORD dst_unused:UNUSED_PAD src0_sel:DWORD src1_sel:BYTE_1
	v_cmp_gt_i64_e64 s[24:25], 0, v[0:1]
	v_not_b32_e32 v1, v1
	v_ashrrev_i32_e32 v1, 31, v1
	v_xor_b32_e32 v3, s25, v1
	v_xor_b32_e32 v1, s24, v1
	; wave barrier
	ds_read_b32 v11, v28 offset:16
	v_and_b32_e32 v3, v2, v3
	v_and_b32_e32 v2, v31, v1
	v_mbcnt_lo_u32_b32 v1, v2, 0
	v_mbcnt_hi_u32_b32 v31, v3, v1
	v_cmp_eq_u32_e64 s[24:25], 0, v31
	v_cmp_ne_u64_e64 s[26:27], 0, v[2:3]
	s_and_b64 s[26:27], s[26:27], s[24:25]
	; wave barrier
	s_and_saveexec_b64 s[24:25], s[26:27]
	s_cbranch_execz .LBB40_52
; %bb.51:
	v_bcnt_u32_b32 v1, v2, 0
	v_bcnt_u32_b32 v1, v3, v1
	s_waitcnt lgkmcnt(0)
	v_add_u32_e32 v1, v11, v1
	ds_write_b32 v28, v1 offset:16
.LBB40_52:
	s_or_b64 exec, exec, s[24:25]
	v_mov_b32_e32 v2, 2
	v_lshlrev_b16_sdwa v1, v2, v35 dst_sel:DWORD dst_unused:UNUSED_PAD src0_sel:DWORD src1_sel:BYTE_1
	v_mov_b32_e32 v40, 1
	v_add_lshl_u32 v33, v12, v1, 2
	v_and_b32_sdwa v1, v35, v40 dst_sel:DWORD dst_unused:UNUSED_PAD src0_sel:BYTE_1 src1_sel:DWORD
	v_add_co_u32_e64 v3, s[24:25], -1, v1
	v_addc_co_u32_e64 v34, s[24:25], 0, -1, s[24:25]
	v_cmp_ne_u32_e64 s[24:25], 0, v1
	v_xor_b32_e32 v3, s24, v3
	v_xor_b32_e32 v1, s25, v34
	v_and_b32_e32 v38, exec_lo, v3
	v_mov_b32_e32 v3, 30
	v_and_b32_e32 v34, exec_hi, v1
	v_lshlrev_b32_sdwa v1, v3, v35 dst_sel:DWORD dst_unused:UNUSED_PAD src0_sel:DWORD src1_sel:BYTE_1
	v_cmp_gt_i64_e64 s[24:25], 0, v[0:1]
	v_not_b32_e32 v1, v1
	v_ashrrev_i32_e32 v1, 31, v1
	v_xor_b32_e32 v39, s25, v1
	v_xor_b32_e32 v1, s24, v1
	v_mov_b32_e32 v41, 29
	v_and_b32_e32 v38, v38, v1
	v_lshlrev_b32_sdwa v1, v41, v35 dst_sel:DWORD dst_unused:UNUSED_PAD src0_sel:DWORD src1_sel:BYTE_1
	v_cmp_gt_i64_e64 s[24:25], 0, v[0:1]
	v_not_b32_e32 v1, v1
	v_ashrrev_i32_e32 v1, 31, v1
	v_and_b32_e32 v34, v34, v39
	v_xor_b32_e32 v39, s25, v1
	v_xor_b32_e32 v1, s24, v1
	v_mov_b32_e32 v42, 28
	v_and_b32_e32 v38, v38, v1
	v_lshlrev_b32_sdwa v1, v42, v35 dst_sel:DWORD dst_unused:UNUSED_PAD src0_sel:DWORD src1_sel:BYTE_1
	v_cmp_gt_i64_e64 s[24:25], 0, v[0:1]
	v_not_b32_e32 v1, v1
	v_ashrrev_i32_e32 v1, 31, v1
	v_and_b32_e32 v34, v34, v39
	;; [unrolled: 9-line block ×5, first 2 shown]
	v_xor_b32_e32 v39, s25, v1
	v_xor_b32_e32 v1, s24, v1
	v_mov_b32_e32 v46, 24
	v_and_b32_e32 v38, v38, v1
	v_lshlrev_b32_sdwa v1, v46, v35 dst_sel:DWORD dst_unused:UNUSED_PAD src0_sel:DWORD src1_sel:BYTE_1
	v_cmp_gt_i64_e64 s[24:25], 0, v[0:1]
	v_not_b32_e32 v0, v1
	v_ashrrev_i32_e32 v0, 31, v0
	v_xor_b32_e32 v1, s25, v0
	v_xor_b32_e32 v0, s24, v0
	; wave barrier
	ds_read_b32 v32, v33 offset:16
	v_and_b32_e32 v34, v34, v39
	v_and_b32_e32 v0, v38, v0
	;; [unrolled: 1-line block ×3, first 2 shown]
	v_mbcnt_lo_u32_b32 v34, v0, 0
	v_mbcnt_hi_u32_b32 v34, v1, v34
	v_cmp_eq_u32_e64 s[24:25], 0, v34
	v_cmp_ne_u64_e64 s[26:27], 0, v[0:1]
	s_and_b64 s[26:27], s[26:27], s[24:25]
	; wave barrier
	s_and_saveexec_b64 s[24:25], s[26:27]
	s_cbranch_execz .LBB40_54
; %bb.53:
	v_bcnt_u32_b32 v0, v0, 0
	v_bcnt_u32_b32 v0, v1, v0
	s_waitcnt lgkmcnt(0)
	v_add_u32_e32 v0, v32, v0
	ds_write_b32 v33, v0 offset:16
.LBB40_54:
	s_or_b64 exec, exec, s[24:25]
	v_and_b32_sdwa v1, v30, v40 dst_sel:DWORD dst_unused:UNUSED_PAD src0_sel:BYTE_1 src1_sel:DWORD
	v_lshlrev_b16_sdwa v0, v2, v30 dst_sel:DWORD dst_unused:UNUSED_PAD src0_sel:DWORD src1_sel:BYTE_1
	v_add_co_u32_e64 v2, s[24:25], -1, v1
	v_addc_co_u32_e64 v40, s[24:25], 0, -1, s[24:25]
	v_cmp_ne_u32_e64 s[24:25], 0, v1
	v_xor_b32_e32 v1, s25, v40
	v_add_lshl_u32 v39, v12, v0, 2
	v_mov_b32_e32 v0, 0
	v_and_b32_e32 v40, exec_hi, v1
	v_lshlrev_b32_sdwa v1, v3, v30 dst_sel:DWORD dst_unused:UNUSED_PAD src0_sel:DWORD src1_sel:BYTE_1
	v_xor_b32_e32 v2, s24, v2
	v_cmp_gt_i64_e64 s[24:25], 0, v[0:1]
	v_not_b32_e32 v1, v1
	v_ashrrev_i32_e32 v1, 31, v1
	v_and_b32_e32 v2, exec_lo, v2
	v_xor_b32_e32 v3, s25, v1
	v_xor_b32_e32 v1, s24, v1
	v_and_b32_e32 v2, v2, v1
	v_lshlrev_b32_sdwa v1, v41, v30 dst_sel:DWORD dst_unused:UNUSED_PAD src0_sel:DWORD src1_sel:BYTE_1
	v_cmp_gt_i64_e64 s[24:25], 0, v[0:1]
	v_not_b32_e32 v1, v1
	v_ashrrev_i32_e32 v1, 31, v1
	v_and_b32_e32 v3, v40, v3
	v_xor_b32_e32 v40, s25, v1
	v_xor_b32_e32 v1, s24, v1
	v_and_b32_e32 v2, v2, v1
	v_lshlrev_b32_sdwa v1, v42, v30 dst_sel:DWORD dst_unused:UNUSED_PAD src0_sel:DWORD src1_sel:BYTE_1
	v_cmp_gt_i64_e64 s[24:25], 0, v[0:1]
	v_not_b32_e32 v1, v1
	v_ashrrev_i32_e32 v1, 31, v1
	v_and_b32_e32 v3, v3, v40
	;; [unrolled: 8-line block ×6, first 2 shown]
	v_xor_b32_e32 v40, s25, v1
	v_xor_b32_e32 v1, s24, v1
	; wave barrier
	ds_read_b32 v38, v39 offset:16
	v_and_b32_e32 v2, v2, v1
	v_and_b32_e32 v3, v3, v40
	v_mbcnt_lo_u32_b32 v1, v2, 0
	v_mbcnt_hi_u32_b32 v40, v3, v1
	v_cmp_eq_u32_e64 s[24:25], 0, v40
	v_cmp_ne_u64_e64 s[26:27], 0, v[2:3]
	s_and_b64 s[26:27], s[26:27], s[24:25]
	; wave barrier
	s_and_saveexec_b64 s[24:25], s[26:27]
	s_cbranch_execz .LBB40_56
; %bb.55:
	v_bcnt_u32_b32 v1, v2, 0
	v_bcnt_u32_b32 v1, v3, v1
	s_waitcnt lgkmcnt(0)
	v_add_u32_e32 v1, v38, v1
	ds_write_b32 v39, v1 offset:16
.LBB40_56:
	s_or_b64 exec, exec, s[24:25]
	v_mov_b32_e32 v2, 2
	v_lshlrev_b16_sdwa v1, v2, v29 dst_sel:DWORD dst_unused:UNUSED_PAD src0_sel:DWORD src1_sel:BYTE_1
	v_mov_b32_e32 v46, 1
	v_add_lshl_u32 v42, v12, v1, 2
	v_and_b32_sdwa v1, v29, v46 dst_sel:DWORD dst_unused:UNUSED_PAD src0_sel:BYTE_1 src1_sel:DWORD
	v_add_co_u32_e64 v3, s[24:25], -1, v1
	v_addc_co_u32_e64 v43, s[24:25], 0, -1, s[24:25]
	v_cmp_ne_u32_e64 s[24:25], 0, v1
	v_xor_b32_e32 v3, s24, v3
	v_xor_b32_e32 v1, s25, v43
	v_and_b32_e32 v44, exec_lo, v3
	v_mov_b32_e32 v3, 30
	v_and_b32_e32 v43, exec_hi, v1
	v_lshlrev_b32_sdwa v1, v3, v29 dst_sel:DWORD dst_unused:UNUSED_PAD src0_sel:DWORD src1_sel:BYTE_1
	v_cmp_gt_i64_e64 s[24:25], 0, v[0:1]
	v_not_b32_e32 v1, v1
	v_ashrrev_i32_e32 v1, 31, v1
	v_xor_b32_e32 v45, s25, v1
	v_xor_b32_e32 v1, s24, v1
	v_mov_b32_e32 v47, 29
	v_and_b32_e32 v44, v44, v1
	v_lshlrev_b32_sdwa v1, v47, v29 dst_sel:DWORD dst_unused:UNUSED_PAD src0_sel:DWORD src1_sel:BYTE_1
	v_cmp_gt_i64_e64 s[24:25], 0, v[0:1]
	v_not_b32_e32 v1, v1
	v_ashrrev_i32_e32 v1, 31, v1
	v_and_b32_e32 v43, v43, v45
	v_xor_b32_e32 v45, s25, v1
	v_xor_b32_e32 v1, s24, v1
	v_mov_b32_e32 v48, 28
	v_and_b32_e32 v44, v44, v1
	v_lshlrev_b32_sdwa v1, v48, v29 dst_sel:DWORD dst_unused:UNUSED_PAD src0_sel:DWORD src1_sel:BYTE_1
	v_cmp_gt_i64_e64 s[24:25], 0, v[0:1]
	v_not_b32_e32 v1, v1
	v_ashrrev_i32_e32 v1, 31, v1
	v_and_b32_e32 v43, v43, v45
	;; [unrolled: 9-line block ×5, first 2 shown]
	v_xor_b32_e32 v45, s25, v1
	v_xor_b32_e32 v1, s24, v1
	v_mov_b32_e32 v52, 24
	v_and_b32_e32 v44, v44, v1
	v_lshlrev_b32_sdwa v1, v52, v29 dst_sel:DWORD dst_unused:UNUSED_PAD src0_sel:DWORD src1_sel:BYTE_1
	v_cmp_gt_i64_e64 s[24:25], 0, v[0:1]
	v_not_b32_e32 v0, v1
	v_ashrrev_i32_e32 v0, 31, v0
	v_xor_b32_e32 v1, s25, v0
	v_xor_b32_e32 v0, s24, v0
	; wave barrier
	ds_read_b32 v41, v42 offset:16
	v_and_b32_e32 v43, v43, v45
	v_and_b32_e32 v0, v44, v0
	;; [unrolled: 1-line block ×3, first 2 shown]
	v_mbcnt_lo_u32_b32 v43, v0, 0
	v_mbcnt_hi_u32_b32 v43, v1, v43
	v_cmp_eq_u32_e64 s[24:25], 0, v43
	v_cmp_ne_u64_e64 s[26:27], 0, v[0:1]
	s_and_b64 s[26:27], s[26:27], s[24:25]
	; wave barrier
	s_and_saveexec_b64 s[24:25], s[26:27]
	s_cbranch_execz .LBB40_58
; %bb.57:
	v_bcnt_u32_b32 v0, v0, 0
	v_bcnt_u32_b32 v0, v1, v0
	s_waitcnt lgkmcnt(0)
	v_add_u32_e32 v0, v41, v0
	ds_write_b32 v42, v0 offset:16
.LBB40_58:
	s_or_b64 exec, exec, s[24:25]
	v_and_b32_sdwa v1, v26, v46 dst_sel:DWORD dst_unused:UNUSED_PAD src0_sel:BYTE_1 src1_sel:DWORD
	v_lshlrev_b16_sdwa v0, v2, v26 dst_sel:DWORD dst_unused:UNUSED_PAD src0_sel:DWORD src1_sel:BYTE_1
	v_add_co_u32_e64 v2, s[24:25], -1, v1
	v_addc_co_u32_e64 v46, s[24:25], 0, -1, s[24:25]
	v_cmp_ne_u32_e64 s[24:25], 0, v1
	v_xor_b32_e32 v1, s25, v46
	v_add_lshl_u32 v45, v12, v0, 2
	v_mov_b32_e32 v0, 0
	v_and_b32_e32 v46, exec_hi, v1
	v_lshlrev_b32_sdwa v1, v3, v26 dst_sel:DWORD dst_unused:UNUSED_PAD src0_sel:DWORD src1_sel:BYTE_1
	v_xor_b32_e32 v2, s24, v2
	v_cmp_gt_i64_e64 s[24:25], 0, v[0:1]
	v_not_b32_e32 v1, v1
	v_ashrrev_i32_e32 v1, 31, v1
	v_and_b32_e32 v2, exec_lo, v2
	v_xor_b32_e32 v3, s25, v1
	v_xor_b32_e32 v1, s24, v1
	v_and_b32_e32 v2, v2, v1
	v_lshlrev_b32_sdwa v1, v47, v26 dst_sel:DWORD dst_unused:UNUSED_PAD src0_sel:DWORD src1_sel:BYTE_1
	v_cmp_gt_i64_e64 s[24:25], 0, v[0:1]
	v_not_b32_e32 v1, v1
	v_ashrrev_i32_e32 v1, 31, v1
	v_and_b32_e32 v3, v46, v3
	v_xor_b32_e32 v46, s25, v1
	v_xor_b32_e32 v1, s24, v1
	v_and_b32_e32 v2, v2, v1
	v_lshlrev_b32_sdwa v1, v48, v26 dst_sel:DWORD dst_unused:UNUSED_PAD src0_sel:DWORD src1_sel:BYTE_1
	v_cmp_gt_i64_e64 s[24:25], 0, v[0:1]
	v_not_b32_e32 v1, v1
	v_ashrrev_i32_e32 v1, 31, v1
	v_and_b32_e32 v3, v3, v46
	;; [unrolled: 8-line block ×6, first 2 shown]
	v_xor_b32_e32 v46, s25, v1
	v_xor_b32_e32 v1, s24, v1
	; wave barrier
	ds_read_b32 v44, v45 offset:16
	v_and_b32_e32 v2, v2, v1
	v_and_b32_e32 v3, v3, v46
	v_mbcnt_lo_u32_b32 v1, v2, 0
	v_mbcnt_hi_u32_b32 v46, v3, v1
	v_cmp_eq_u32_e64 s[24:25], 0, v46
	v_cmp_ne_u64_e64 s[26:27], 0, v[2:3]
	s_and_b64 s[26:27], s[26:27], s[24:25]
	; wave barrier
	s_and_saveexec_b64 s[24:25], s[26:27]
	s_cbranch_execz .LBB40_60
; %bb.59:
	v_bcnt_u32_b32 v1, v2, 0
	v_bcnt_u32_b32 v1, v3, v1
	s_waitcnt lgkmcnt(0)
	v_add_u32_e32 v1, v44, v1
	ds_write_b32 v45, v1 offset:16
.LBB40_60:
	s_or_b64 exec, exec, s[24:25]
	v_mov_b32_e32 v1, 2
	v_lshlrev_b16_sdwa v1, v1, v25 dst_sel:DWORD dst_unused:UNUSED_PAD src0_sel:DWORD src1_sel:BYTE_1
	v_add_lshl_u32 v47, v12, v1, 2
	v_mov_b32_e32 v1, 1
	v_and_b32_sdwa v1, v25, v1 dst_sel:DWORD dst_unused:UNUSED_PAD src0_sel:BYTE_1 src1_sel:DWORD
	v_add_co_u32_e64 v2, s[24:25], -1, v1
	v_addc_co_u32_e64 v3, s[24:25], 0, -1, s[24:25]
	v_cmp_ne_u32_e64 s[24:25], 0, v1
	v_xor_b32_e32 v1, s25, v3
	v_and_b32_e32 v3, exec_hi, v1
	v_mov_b32_e32 v1, 30
	v_lshlrev_b32_sdwa v1, v1, v25 dst_sel:DWORD dst_unused:UNUSED_PAD src0_sel:DWORD src1_sel:BYTE_1
	v_xor_b32_e32 v2, s24, v2
	v_cmp_gt_i64_e64 s[24:25], 0, v[0:1]
	v_not_b32_e32 v1, v1
	v_ashrrev_i32_e32 v1, 31, v1
	v_and_b32_e32 v2, exec_lo, v2
	v_xor_b32_e32 v48, s25, v1
	v_xor_b32_e32 v1, s24, v1
	v_and_b32_e32 v2, v2, v1
	v_mov_b32_e32 v1, 29
	v_lshlrev_b32_sdwa v1, v1, v25 dst_sel:DWORD dst_unused:UNUSED_PAD src0_sel:DWORD src1_sel:BYTE_1
	v_cmp_gt_i64_e64 s[24:25], 0, v[0:1]
	v_not_b32_e32 v1, v1
	v_ashrrev_i32_e32 v1, 31, v1
	v_and_b32_e32 v3, v3, v48
	v_xor_b32_e32 v48, s25, v1
	v_xor_b32_e32 v1, s24, v1
	v_and_b32_e32 v2, v2, v1
	v_mov_b32_e32 v1, 28
	v_lshlrev_b32_sdwa v1, v1, v25 dst_sel:DWORD dst_unused:UNUSED_PAD src0_sel:DWORD src1_sel:BYTE_1
	v_cmp_gt_i64_e64 s[24:25], 0, v[0:1]
	v_not_b32_e32 v1, v1
	v_ashrrev_i32_e32 v1, 31, v1
	v_and_b32_e32 v3, v3, v48
	v_xor_b32_e32 v48, s25, v1
	v_xor_b32_e32 v1, s24, v1
	v_and_b32_e32 v2, v2, v1
	v_mov_b32_e32 v1, 27
	v_lshlrev_b32_sdwa v1, v1, v25 dst_sel:DWORD dst_unused:UNUSED_PAD src0_sel:DWORD src1_sel:BYTE_1
	v_cmp_gt_i64_e64 s[24:25], 0, v[0:1]
	v_not_b32_e32 v1, v1
	v_ashrrev_i32_e32 v1, 31, v1
	v_and_b32_e32 v3, v3, v48
	v_xor_b32_e32 v48, s25, v1
	v_xor_b32_e32 v1, s24, v1
	v_and_b32_e32 v2, v2, v1
	v_mov_b32_e32 v1, 26
	v_lshlrev_b32_sdwa v1, v1, v25 dst_sel:DWORD dst_unused:UNUSED_PAD src0_sel:DWORD src1_sel:BYTE_1
	v_cmp_gt_i64_e64 s[24:25], 0, v[0:1]
	v_not_b32_e32 v1, v1
	v_ashrrev_i32_e32 v1, 31, v1
	v_and_b32_e32 v3, v3, v48
	v_xor_b32_e32 v48, s25, v1
	v_xor_b32_e32 v1, s24, v1
	v_and_b32_e32 v2, v2, v1
	v_mov_b32_e32 v1, 25
	v_lshlrev_b32_sdwa v1, v1, v25 dst_sel:DWORD dst_unused:UNUSED_PAD src0_sel:DWORD src1_sel:BYTE_1
	v_cmp_gt_i64_e64 s[24:25], 0, v[0:1]
	v_not_b32_e32 v1, v1
	v_ashrrev_i32_e32 v1, 31, v1
	v_and_b32_e32 v3, v3, v48
	v_xor_b32_e32 v48, s25, v1
	v_xor_b32_e32 v1, s24, v1
	v_and_b32_e32 v2, v2, v1
	v_mov_b32_e32 v1, 24
	v_lshlrev_b32_sdwa v1, v1, v25 dst_sel:DWORD dst_unused:UNUSED_PAD src0_sel:DWORD src1_sel:BYTE_1
	v_cmp_gt_i64_e64 s[24:25], 0, v[0:1]
	v_not_b32_e32 v0, v1
	v_ashrrev_i32_e32 v0, 31, v0
	v_xor_b32_e32 v1, s25, v0
	v_xor_b32_e32 v0, s24, v0
	; wave barrier
	ds_read_b32 v12, v47 offset:16
	v_and_b32_e32 v3, v3, v48
	v_and_b32_e32 v0, v2, v0
	;; [unrolled: 1-line block ×3, first 2 shown]
	v_mbcnt_lo_u32_b32 v2, v0, 0
	v_mbcnt_hi_u32_b32 v48, v1, v2
	v_cmp_eq_u32_e64 s[24:25], 0, v48
	v_cmp_ne_u64_e64 s[26:27], 0, v[0:1]
	s_and_b64 s[26:27], s[26:27], s[24:25]
	; wave barrier
	s_and_saveexec_b64 s[24:25], s[26:27]
	s_cbranch_execz .LBB40_62
; %bb.61:
	v_bcnt_u32_b32 v0, v0, 0
	v_bcnt_u32_b32 v0, v1, v0
	s_waitcnt lgkmcnt(0)
	v_add_u32_e32 v0, v12, v0
	ds_write_b32 v47, v0 offset:16
.LBB40_62:
	s_or_b64 exec, exec, s[24:25]
	; wave barrier
	s_waitcnt lgkmcnt(0)
	s_barrier
	ds_read2_b64 v[0:3], v18 offset0:2 offset1:3
	s_waitcnt lgkmcnt(0)
	v_add_u32_e32 v49, v1, v0
	v_add3_u32 v3, v49, v2, v3
	s_nop 1
	v_mov_b32_dpp v49, v3 row_shr:1 row_mask:0xf bank_mask:0xf
	v_cndmask_b32_e64 v49, v49, 0, s[6:7]
	v_add_u32_e32 v3, v49, v3
	s_nop 1
	v_mov_b32_dpp v49, v3 row_shr:2 row_mask:0xf bank_mask:0xf
	v_cndmask_b32_e64 v49, 0, v49, s[8:9]
	v_add_u32_e32 v3, v3, v49
	;; [unrolled: 4-line block ×4, first 2 shown]
	s_nop 1
	v_mov_b32_dpp v49, v3 row_bcast:15 row_mask:0xf bank_mask:0xf
	v_cndmask_b32_e64 v49, v49, 0, s[0:1]
	v_add_u32_e32 v3, v3, v49
	s_nop 1
	v_mov_b32_dpp v49, v3 row_bcast:31 row_mask:0xf bank_mask:0xf
	v_cndmask_b32_e64 v49, 0, v49, s[16:17]
	v_add_u32_e32 v3, v3, v49
	s_and_saveexec_b64 s[0:1], vcc
	s_cbranch_execz .LBB40_64
; %bb.63:
	ds_write_b32 v19, v3
.LBB40_64:
	s_or_b64 exec, exec, s[0:1]
	s_waitcnt lgkmcnt(0)
	s_barrier
	s_and_saveexec_b64 s[0:1], s[10:11]
	s_cbranch_execz .LBB40_66
; %bb.65:
	ds_read_b32 v19, v13
	s_waitcnt lgkmcnt(0)
	s_nop 0
	v_mov_b32_dpp v49, v19 row_shr:1 row_mask:0xf bank_mask:0xf
	v_cndmask_b32_e64 v49, v49, 0, s[4:5]
	v_add_u32_e32 v19, v49, v19
	s_nop 1
	v_mov_b32_dpp v49, v19 row_shr:2 row_mask:0xf bank_mask:0xf
	v_cndmask_b32_e64 v49, 0, v49, s[2:3]
	v_add_u32_e32 v19, v19, v49
	ds_write_b32 v13, v19
.LBB40_66:
	s_or_b64 exec, exec, s[0:1]
	v_mov_b32_e32 v13, 0
	s_waitcnt lgkmcnt(0)
	s_barrier
	s_and_saveexec_b64 s[0:1], s[18:19]
	s_cbranch_execz .LBB40_68
; %bb.67:
	ds_read_b32 v13, v14
.LBB40_68:
	s_or_b64 exec, exec, s[0:1]
	s_waitcnt lgkmcnt(0)
	v_add_u32_e32 v3, v13, v3
	ds_bpermute_b32 v3, v15, v3
	s_waitcnt lgkmcnt(0)
	v_cndmask_b32_e64 v3, v3, v13, s[20:21]
	v_cndmask_b32_e64 v14, v3, 0, s[22:23]
	v_add_u32_e32 v15, v14, v0
	v_add_u32_e32 v0, v15, v1
	;; [unrolled: 1-line block ×3, first 2 shown]
	ds_write2_b64 v18, v[14:15], v[0:1] offset0:2 offset1:3
	s_waitcnt lgkmcnt(0)
	s_barrier
	ds_read_b32 v0, v47 offset:16
	ds_read_b32 v1, v45 offset:16
	v_add_u32_e32 v14, 4, v5
	s_waitcnt lgkmcnt(1)
	v_add3_u32 v12, v48, v12, v0
	ds_read_b32 v0, v42 offset:16
	s_waitcnt lgkmcnt(1)
	v_add3_u32 v15, v46, v44, v1
	ds_read_b32 v1, v39 offset:16
	ds_read_b32 v2, v33 offset:16
	;; [unrolled: 1-line block ×4, first 2 shown]
	s_waitcnt lgkmcnt(0)
	s_barrier
	v_add3_u32 v18, v43, v41, v0
	v_add3_u32 v11, v31, v11, v3
	v_add_u32_e32 v10, v13, v10
	v_lshlrev_b32_e32 v0, 1, v10
	v_add3_u32 v27, v34, v32, v2
	ds_write_b16 v0, v37
	v_lshlrev_b32_e32 v0, 1, v11
	v_add3_u32 v19, v40, v38, v1
	ds_write_b16 v0, v36
	v_lshlrev_b32_e32 v0, 1, v27
	ds_write_b16 v0, v35
	v_lshlrev_b32_e32 v0, 1, v19
	;; [unrolled: 2-line block ×5, first 2 shown]
	ds_write_b16 v0, v25
	s_waitcnt lgkmcnt(0)
	s_barrier
	ds_read_b96 v[0:2], v17
	ds_read_u16 v3, v17 offset:12
	v_add_u32_e32 v38, 2, v5
	v_add_u32_e32 v13, 6, v5
	s_waitcnt lgkmcnt(0)
	s_barrier
	ds_write_b8 v10, v4
	ds_write_b8 v11, v16
	;; [unrolled: 1-line block ×7, first 2 shown]
	s_waitcnt lgkmcnt(0)
	s_barrier
.LBB40_69:
	s_waitcnt lgkmcnt(0)
	ds_read_u8 v4, v5
	ds_read_u8 v10, v5 offset:1
	ds_read_u8 v11, v5 offset:3
	;; [unrolled: 1-line block ×3, first 2 shown]
	ds_read_u8 v12, v38
	ds_read_u8 v14, v14
	;; [unrolled: 1-line block ×3, first 2 shown]
	global_store_short v[8:9], v3, off offset:12
	global_store_dwordx3 v[8:9], v[0:2], off
	s_waitcnt lgkmcnt(5)
	v_lshlrev_b16_e32 v0, 8, v10
	s_waitcnt lgkmcnt(4)
	v_lshlrev_b16_e32 v1, 8, v11
	v_or_b32_e32 v0, v4, v0
	s_waitcnt lgkmcnt(2)
	v_or_b32_sdwa v1, v12, v1 dst_sel:WORD_1 dst_unused:UNUSED_PAD src0_sel:DWORD src1_sel:DWORD
	v_or_b32_sdwa v0, v0, v1 dst_sel:DWORD dst_unused:UNUSED_PAD src0_sel:WORD_0 src1_sel:DWORD
	v_lshlrev_b16_e32 v1, 8, v5
	s_waitcnt lgkmcnt(1)
	v_or_b32_e32 v1, v14, v1
	s_waitcnt lgkmcnt(0)
	global_store_byte v[6:7], v13, off offset:6
	global_store_short v[6:7], v1, off offset:4
	global_store_dword v[6:7], v0, off
	s_endpgm
	.section	.rodata,"a",@progbits
	.p2align	6, 0x0
	.amdhsa_kernel _Z21sort_key_value_kernelILj256ELj7ELb0ELb0EtcEvPT3_PT4_jj
		.amdhsa_group_segment_fixed_size 4112
		.amdhsa_private_segment_fixed_size 0
		.amdhsa_kernarg_size 280
		.amdhsa_user_sgpr_count 6
		.amdhsa_user_sgpr_private_segment_buffer 1
		.amdhsa_user_sgpr_dispatch_ptr 0
		.amdhsa_user_sgpr_queue_ptr 0
		.amdhsa_user_sgpr_kernarg_segment_ptr 1
		.amdhsa_user_sgpr_dispatch_id 0
		.amdhsa_user_sgpr_flat_scratch_init 0
		.amdhsa_user_sgpr_kernarg_preload_length 0
		.amdhsa_user_sgpr_kernarg_preload_offset 0
		.amdhsa_user_sgpr_private_segment_size 0
		.amdhsa_uses_dynamic_stack 0
		.amdhsa_system_sgpr_private_segment_wavefront_offset 0
		.amdhsa_system_sgpr_workgroup_id_x 1
		.amdhsa_system_sgpr_workgroup_id_y 0
		.amdhsa_system_sgpr_workgroup_id_z 0
		.amdhsa_system_sgpr_workgroup_info 0
		.amdhsa_system_vgpr_workitem_id 2
		.amdhsa_next_free_vgpr 76
		.amdhsa_next_free_sgpr 42
		.amdhsa_accum_offset 76
		.amdhsa_reserve_vcc 1
		.amdhsa_reserve_flat_scratch 0
		.amdhsa_float_round_mode_32 0
		.amdhsa_float_round_mode_16_64 0
		.amdhsa_float_denorm_mode_32 3
		.amdhsa_float_denorm_mode_16_64 3
		.amdhsa_dx10_clamp 1
		.amdhsa_ieee_mode 1
		.amdhsa_fp16_overflow 0
		.amdhsa_tg_split 0
		.amdhsa_exception_fp_ieee_invalid_op 0
		.amdhsa_exception_fp_denorm_src 0
		.amdhsa_exception_fp_ieee_div_zero 0
		.amdhsa_exception_fp_ieee_overflow 0
		.amdhsa_exception_fp_ieee_underflow 0
		.amdhsa_exception_fp_ieee_inexact 0
		.amdhsa_exception_int_div_zero 0
	.end_amdhsa_kernel
	.section	.text._Z21sort_key_value_kernelILj256ELj7ELb0ELb0EtcEvPT3_PT4_jj,"axG",@progbits,_Z21sort_key_value_kernelILj256ELj7ELb0ELb0EtcEvPT3_PT4_jj,comdat
.Lfunc_end40:
	.size	_Z21sort_key_value_kernelILj256ELj7ELb0ELb0EtcEvPT3_PT4_jj, .Lfunc_end40-_Z21sort_key_value_kernelILj256ELj7ELb0ELb0EtcEvPT3_PT4_jj
                                        ; -- End function
	.section	.AMDGPU.csdata,"",@progbits
; Kernel info:
; codeLenInByte = 12404
; NumSgprs: 46
; NumVgprs: 76
; NumAgprs: 0
; TotalNumVgprs: 76
; ScratchSize: 0
; MemoryBound: 0
; FloatMode: 240
; IeeeMode: 1
; LDSByteSize: 4112 bytes/workgroup (compile time only)
; SGPRBlocks: 5
; VGPRBlocks: 9
; NumSGPRsForWavesPerEU: 46
; NumVGPRsForWavesPerEU: 76
; AccumOffset: 76
; Occupancy: 6
; WaveLimiterHint : 0
; COMPUTE_PGM_RSRC2:SCRATCH_EN: 0
; COMPUTE_PGM_RSRC2:USER_SGPR: 6
; COMPUTE_PGM_RSRC2:TRAP_HANDLER: 0
; COMPUTE_PGM_RSRC2:TGID_X_EN: 1
; COMPUTE_PGM_RSRC2:TGID_Y_EN: 0
; COMPUTE_PGM_RSRC2:TGID_Z_EN: 0
; COMPUTE_PGM_RSRC2:TIDIG_COMP_CNT: 2
; COMPUTE_PGM_RSRC3_GFX90A:ACCUM_OFFSET: 18
; COMPUTE_PGM_RSRC3_GFX90A:TG_SPLIT: 0
	.section	.text._Z21sort_key_value_kernelILj128ELj4ELb0ELb0EisEvPT3_PT4_jj,"axG",@progbits,_Z21sort_key_value_kernelILj128ELj4ELb0ELb0EisEvPT3_PT4_jj,comdat
	.protected	_Z21sort_key_value_kernelILj128ELj4ELb0ELb0EisEvPT3_PT4_jj ; -- Begin function _Z21sort_key_value_kernelILj128ELj4ELb0ELb0EisEvPT3_PT4_jj
	.globl	_Z21sort_key_value_kernelILj128ELj4ELb0ELb0EisEvPT3_PT4_jj
	.p2align	8
	.type	_Z21sort_key_value_kernelILj128ELj4ELb0ELb0EisEvPT3_PT4_jj,@function
_Z21sort_key_value_kernelILj128ELj4ELb0ELb0EisEvPT3_PT4_jj: ; @_Z21sort_key_value_kernelILj128ELj4ELb0ELb0EisEvPT3_PT4_jj
; %bb.0:
	s_load_dwordx4 s[0:3], s[4:5], 0x0
	s_load_dwordx2 s[42:43], s[4:5], 0x10
	s_mov_b32 s44, 0
	s_lshl_b32 s6, s6, 9
	s_mov_b32 s7, s44
	s_lshl_b64 s[8:9], s[6:7], 2
	s_waitcnt lgkmcnt(0)
	s_add_u32 s38, s0, s8
	s_addc_u32 s39, s1, s9
	s_lshl_b64 s[0:1], s[6:7], 1
	v_and_b32_e32 v4, 0x3ff, v0
	s_add_u32 s40, s2, s0
	v_lshlrev_b32_e32 v7, 4, v4
	s_addc_u32 s41, s3, s1
	v_lshlrev_b32_e32 v28, 3, v4
	global_load_dwordx4 v[22:25], v7, s[38:39]
	global_load_dwordx2 v[2:3], v28, s[40:41]
	v_mbcnt_lo_u32_b32 v1, -1, 0
	v_mbcnt_hi_u32_b32 v10, -1, v1
	s_cmp_lg_u32 s42, 0
	v_bfe_u32 v18, v0, 10, 10
	v_bfe_u32 v21, v0, 20, 10
	v_lshrrev_b32_e32 v0, 2, v10
	v_and_b32_e32 v11, 64, v10
	v_and_b32_e32 v1, 3, v10
	s_cselect_b64 s[22:23], -1, 0
	s_cmp_lg_u32 s43, 32
	v_cmp_eq_u32_e64 s[0:1], 3, v1
	v_cmp_eq_u32_e64 s[2:3], 2, v1
	;; [unrolled: 1-line block ×4, first 2 shown]
	v_or_b32_e32 v1, v0, v11
	s_cselect_b64 s[24:25], -1, 0
	v_lshlrev_b32_e32 v16, 2, v4
	v_lshlrev_b32_e32 v27, 2, v1
	s_or_b64 s[22:23], s[22:23], s[24:25]
	s_mov_b32 s20, 0xffff
	v_and_b32_e32 v19, 15, v10
	v_and_b32_e32 v20, 16, v10
	v_cmp_lt_u32_e64 s[10:11], 31, v10
	v_cmp_gt_u32_e64 s[12:13], 2, v4
	v_cmp_lt_u32_e64 s[14:15], 63, v4
	v_add_u32_e32 v13, -1, v10
	v_cmp_eq_u32_e64 s[16:17], 0, v10
	v_cmp_eq_u32_e64 s[18:19], 0, v4
	v_lshrrev_b32_e32 v12, 4, v4
	v_mul_i32_i24_e32 v14, -12, v4
	v_and_b32_e32 v15, 1, v10
	v_add_u32_e32 v29, 48, v0
	v_lshlrev_b32_e32 v17, 2, v16
	v_add_u32_e32 v26, 64, v27
	v_mov_b32_e32 v35, s39
	v_mov_b32_e32 v34, s41
	s_and_b64 vcc, exec, s[22:23]
	s_waitcnt vmcnt(1)
	v_xor_b32_e32 v32, 0x80000000, v22
	v_xor_b32_e32 v33, 0x80000000, v23
	v_xor_b32_e32 v31, 0x80000000, v24
	v_xor_b32_e32 v30, 0x80000000, v25
	s_waitcnt vmcnt(0)
	v_lshrrev_b32_e32 v24, 16, v2
	v_lshrrev_b32_e32 v22, 16, v3
	v_and_b32_e32 v25, 0xffff, v2
	v_and_b32_e32 v23, 0xffff, v3
	s_cbranch_vccz .LBB41_20
; %bb.1:
	ds_bpermute_b32 v0, v27, v32
	ds_bpermute_b32 v1, v27, v33
	;; [unrolled: 1-line block ×7, first 2 shown]
	s_waitcnt lgkmcnt(5)
	v_cndmask_b32_e64 v0, v0, v1, s[6:7]
	s_waitcnt lgkmcnt(4)
	v_cndmask_b32_e64 v0, v0, v2, s[2:3]
	;; [unrolled: 2-line block ×3, first 2 shown]
	v_xor_b32_e32 v5, 0x80, v27
	s_waitcnt lgkmcnt(1)
	v_cndmask_b32_e64 v0, v0, v3, s[0:1]
	ds_bpermute_b32 v2, v26, v30
	ds_bpermute_b32 v3, v5, v32
	;; [unrolled: 1-line block ×3, first 2 shown]
	v_and_or_b32 v36, v29, 63, v11
	s_waitcnt lgkmcnt(3)
	v_cndmask_b32_e64 v1, v1, v8, s[2:3]
	ds_bpermute_b32 v8, v5, v31
	v_lshlrev_b32_e32 v36, 2, v36
	ds_bpermute_b32 v9, v5, v30
	ds_bpermute_b32 v37, v36, v32
	;; [unrolled: 1-line block ×3, first 2 shown]
	s_waitcnt lgkmcnt(6)
	v_cndmask_b32_e64 v1, v1, v2, s[0:1]
	s_waitcnt lgkmcnt(4)
	v_cndmask_b32_e64 v2, v3, v6, s[6:7]
	ds_bpermute_b32 v6, v36, v31
	s_waitcnt lgkmcnt(4)
	v_cndmask_b32_e64 v2, v2, v8, s[2:3]
	s_waitcnt lgkmcnt(3)
	v_cndmask_b32_e64 v2, v2, v9, s[0:1]
	;; [unrolled: 2-line block ×3, first 2 shown]
	ds_bpermute_b32 v8, v36, v30
	ds_bpermute_b32 v9, v27, v25
	;; [unrolled: 1-line block ×4, first 2 shown]
	s_waitcnt lgkmcnt(4)
	v_cndmask_b32_e64 v3, v3, v6, s[2:3]
	ds_bpermute_b32 v6, v27, v22
	s_waitcnt lgkmcnt(4)
	v_cndmask_b32_e64 v3, v3, v8, s[0:1]
	s_waitcnt lgkmcnt(2)
	v_cndmask_b32_e64 v8, v9, v37, s[6:7]
	s_waitcnt lgkmcnt(1)
	v_bfi_b32 v9, s20, v38, v8
	v_cndmask_b32_e64 v8, v8, v9, s[2:3]
	ds_bpermute_b32 v9, v26, v25
	s_waitcnt lgkmcnt(1)
	v_bfi_b32 v6, s20, v6, v8
	v_cndmask_b32_e64 v6, v8, v6, s[0:1]
	ds_bpermute_b32 v8, v26, v24
	s_mov_b32 s33, 0x5040100
	s_waitcnt lgkmcnt(1)
	v_perm_b32 v9, v9, v6, s33
	ds_bpermute_b32 v37, v26, v23
	v_cndmask_b32_e64 v6, v6, v9, s[8:9]
	s_waitcnt lgkmcnt(1)
	v_perm_b32 v8, v8, v6, s33
	v_cndmask_b32_e64 v6, v6, v8, s[6:7]
	ds_bpermute_b32 v8, v26, v22
	s_waitcnt lgkmcnt(1)
	v_perm_b32 v9, v37, v6, s33
	v_cndmask_b32_e64 v6, v6, v9, s[2:3]
	ds_bpermute_b32 v9, v5, v25
	ds_bpermute_b32 v37, v5, v24
	s_waitcnt lgkmcnt(2)
	v_perm_b32 v8, v8, v6, s33
	v_cndmask_b32_e64 v50, v6, v8, s[0:1]
	ds_bpermute_b32 v6, v5, v23
	ds_bpermute_b32 v5, v5, v22
	s_waitcnt lgkmcnt(3)
	v_and_b32_e32 v8, 0xffff, v9
	s_waitcnt lgkmcnt(2)
	v_and_b32_e32 v9, 0xffff, v37
	v_cndmask_b32_e64 v8, v8, v9, s[6:7]
	ds_bpermute_b32 v9, v36, v25
	s_waitcnt lgkmcnt(2)
	v_bfi_b32 v6, s20, v6, v8
	v_cndmask_b32_e64 v6, v8, v6, s[2:3]
	ds_bpermute_b32 v8, v36, v24
	s_waitcnt lgkmcnt(2)
	v_bfi_b32 v5, s20, v5, v6
	v_cndmask_b32_e64 v5, v6, v5, s[0:1]
	s_waitcnt lgkmcnt(1)
	v_perm_b32 v6, v9, v5, s33
	v_cndmask_b32_e64 v5, v5, v6, s[8:9]
	s_waitcnt lgkmcnt(0)
	v_perm_b32 v6, v8, v5, s33
	v_cndmask_b32_e64 v5, v5, v6, s[6:7]
	ds_bpermute_b32 v6, v36, v23
	ds_bpermute_b32 v8, v36, v22
	s_waitcnt lgkmcnt(0)
	s_barrier
	s_load_dword s20, s[4:5], 0x24
	v_perm_b32 v6, v6, v5, s33
	v_cndmask_b32_e64 v5, v5, v6, s[2:3]
	v_perm_b32 v6, v8, v5, s33
	v_cndmask_b32_e64 v55, v5, v6, s[0:1]
	s_waitcnt lgkmcnt(0)
	s_lshr_b32 s21, s20, 16
	s_and_b32 s20, s20, 0xffff
	v_mad_u32_u24 v5, v21, s21, v18
	v_mad_u64_u32 v[8:9], s[20:21], v5, s20, v[4:5]
	v_and_b32_e32 v5, 0x3c0, v4
	v_min_u32_e32 v5, 64, v5
	v_or_b32_e32 v5, 63, v5
	v_cmp_lt_i32_e32 vcc, v13, v11
	v_cmp_eq_u32_e64 s[30:31], v5, v4
	v_cndmask_b32_e32 v5, v13, v10, vcc
	s_movk_i32 s36, 0xf00
	v_lshlrev_b32_e32 v37, 2, v5
	v_and_or_b32 v5, v16, s36, v10
	v_lshlrev_b32_e32 v40, 2, v5
	v_lshlrev_b32_e32 v5, 1, v5
	v_and_b32_e32 v38, 60, v12
	v_sub_u32_e32 v5, 0, v5
	v_lshrrev_b32_e32 v36, 6, v8
	v_cmp_eq_u32_e64 s[20:21], 0, v19
	v_cmp_lt_u32_e64 s[22:23], 1, v19
	v_cmp_lt_u32_e64 s[24:25], 3, v19
	;; [unrolled: 1-line block ×3, first 2 shown]
	v_cmp_eq_u32_e64 s[28:29], 0, v20
	v_cmp_eq_u32_e64 s[34:35], 0, v15
	v_add_u32_e32 v39, -4, v38
	s_sub_i32 s39, s43, s42
	s_mov_b32 s45, s44
	s_mov_b32 s46, s44
	;; [unrolled: 1-line block ×3, first 2 shown]
	v_add_u32_e32 v41, v17, v14
	v_add_u32_e32 v42, v40, v5
	v_mov_b32_e32 v8, 0
	s_branch .LBB41_3
.LBB41_2:                               ;   in Loop: Header=BB41_3 Depth=1
	v_add_u32_e32 v50, v53, v54
	s_barrier
	ds_write_b32 v53, v46
	ds_write_b32 v52, v45
	;; [unrolled: 1-line block ×4, first 2 shown]
	s_waitcnt lgkmcnt(0)
	s_barrier
	ds_read2st64_b32 v[0:1], v40 offset1:1
	ds_read2st64_b32 v[2:3], v40 offset0:2 offset1:3
	s_waitcnt lgkmcnt(0)
	s_barrier
	ds_write_b16 v50, v6
	v_lshlrev_b32_e32 v50, 1, v48
	v_sub_u32_e32 v50, v52, v50
	ds_write_b16_d16_hi v50, v6
	v_lshlrev_b32_e32 v50, 1, v47
	v_sub_u32_e32 v50, v51, v50
	ds_write_b16 v50, v5
	v_lshlrev_b32_e32 v50, 1, v9
	v_sub_u32_e32 v50, v49, v50
	ds_write_b16_d16_hi v50, v5
	s_waitcnt lgkmcnt(0)
	s_barrier
	ds_read_u16 v50, v42
	ds_read_u16 v55, v42 offset:128
	ds_read_u16 v56, v42 offset:256
	;; [unrolled: 1-line block ×3, first 2 shown]
	s_add_i32 s39, s39, -8
	s_waitcnt lgkmcnt(2)
	v_perm_b32 v50, v55, v50, s33
	s_waitcnt lgkmcnt(0)
	v_perm_b32 v55, v57, v56, s33
	s_barrier
	s_cbranch_execz .LBB41_19
.LBB41_3:                               ; =>This Inner Loop Header: Depth=1
	s_min_u32 s36, s39, 8
	v_mov_b32_e32 v43, v3
	v_mov_b32_e32 v44, v2
	;; [unrolled: 1-line block ×4, first 2 shown]
	v_pk_mov_b32 v[0:1], s[44:45], s[44:45] op_sel:[0,1]
	v_pk_mov_b32 v[2:3], s[46:47], s[46:47] op_sel:[0,1]
	s_lshl_b32 s36, -1, s36
	ds_write2_b64 v17, v[0:1], v[2:3] offset0:1 offset1:2
	s_not_b32 s41, s36
	v_lshrrev_b32_e32 v0, s42, v46
	v_and_b32_e32 v0, s41, v0
	v_lshl_add_u32 v1, v0, 1, v36
	v_lshl_add_u32 v47, v1, 2, 8
	v_and_b32_e32 v1, 1, v0
	v_add_co_u32_e32 v2, vcc, -1, v1
	v_addc_co_u32_e64 v3, s[36:37], 0, -1, vcc
	v_cmp_ne_u32_e32 vcc, 0, v1
	v_lshlrev_b32_e32 v9, 30, v0
	v_xor_b32_e32 v1, vcc_hi, v3
	v_not_b32_e32 v3, v9
	v_xor_b32_e32 v2, vcc_lo, v2
	v_cmp_gt_i64_e32 vcc, 0, v[8:9]
	v_ashrrev_i32_e32 v3, 31, v3
	v_and_b32_e32 v1, exec_hi, v1
	v_xor_b32_e32 v9, vcc_hi, v3
	v_and_b32_e32 v2, exec_lo, v2
	v_xor_b32_e32 v3, vcc_lo, v3
	v_and_b32_e32 v1, v1, v9
	v_lshlrev_b32_e32 v9, 29, v0
	v_and_b32_e32 v2, v2, v3
	v_not_b32_e32 v3, v9
	v_cmp_gt_i64_e32 vcc, 0, v[8:9]
	v_ashrrev_i32_e32 v3, 31, v3
	v_xor_b32_e32 v9, vcc_hi, v3
	v_xor_b32_e32 v3, vcc_lo, v3
	v_and_b32_e32 v1, v1, v9
	v_lshlrev_b32_e32 v9, 28, v0
	v_and_b32_e32 v2, v2, v3
	v_not_b32_e32 v3, v9
	v_cmp_gt_i64_e32 vcc, 0, v[8:9]
	v_ashrrev_i32_e32 v3, 31, v3
	v_xor_b32_e32 v9, vcc_hi, v3
	;; [unrolled: 8-line block ×5, first 2 shown]
	v_and_b32_e32 v1, v1, v9
	v_lshlrev_b32_e32 v9, 24, v0
	v_not_b32_e32 v0, v9
	v_xor_b32_e32 v3, vcc_lo, v3
	v_cmp_gt_i64_e32 vcc, 0, v[8:9]
	v_ashrrev_i32_e32 v0, 31, v0
	v_and_b32_e32 v2, v2, v3
	v_xor_b32_e32 v3, vcc_hi, v0
	v_xor_b32_e32 v0, vcc_lo, v0
	v_and_b32_e32 v0, v2, v0
	v_and_b32_e32 v1, v1, v3
	v_mbcnt_lo_u32_b32 v2, v0, 0
	v_mbcnt_hi_u32_b32 v48, v1, v2
	v_cmp_eq_u32_e32 vcc, 0, v48
	v_cmp_ne_u64_e64 s[36:37], 0, v[0:1]
	v_mov_b32_e32 v5, v55
	v_mov_b32_e32 v6, v50
	s_and_b64 s[48:49], s[36:37], vcc
	s_waitcnt lgkmcnt(0)
	s_barrier
	s_waitcnt lgkmcnt(0)
	; wave barrier
	s_and_saveexec_b64 s[36:37], s[48:49]
	s_cbranch_execz .LBB41_5
; %bb.4:                                ;   in Loop: Header=BB41_3 Depth=1
	v_bcnt_u32_b32 v0, v0, 0
	v_bcnt_u32_b32 v0, v1, v0
	ds_write_b32 v47, v0
.LBB41_5:                               ;   in Loop: Header=BB41_3 Depth=1
	s_or_b64 exec, exec, s[36:37]
	v_lshrrev_b32_e32 v0, s42, v45
	v_and_b32_e32 v0, s41, v0
	v_lshlrev_b32_e32 v1, 1, v0
	v_add_lshl_u32 v1, v1, v36, 2
	; wave barrier
	v_add_u32_e32 v50, 8, v1
	ds_read_b32 v49, v1 offset:8
	v_and_b32_e32 v1, 1, v0
	v_add_co_u32_e32 v2, vcc, -1, v1
	v_addc_co_u32_e64 v3, s[36:37], 0, -1, vcc
	v_cmp_ne_u32_e32 vcc, 0, v1
	v_lshlrev_b32_e32 v9, 30, v0
	v_xor_b32_e32 v1, vcc_hi, v3
	v_not_b32_e32 v3, v9
	v_xor_b32_e32 v2, vcc_lo, v2
	v_cmp_gt_i64_e32 vcc, 0, v[8:9]
	v_ashrrev_i32_e32 v3, 31, v3
	v_and_b32_e32 v1, exec_hi, v1
	v_xor_b32_e32 v9, vcc_hi, v3
	v_and_b32_e32 v2, exec_lo, v2
	v_xor_b32_e32 v3, vcc_lo, v3
	v_and_b32_e32 v1, v1, v9
	v_lshlrev_b32_e32 v9, 29, v0
	v_and_b32_e32 v2, v2, v3
	v_not_b32_e32 v3, v9
	v_cmp_gt_i64_e32 vcc, 0, v[8:9]
	v_ashrrev_i32_e32 v3, 31, v3
	v_xor_b32_e32 v9, vcc_hi, v3
	v_xor_b32_e32 v3, vcc_lo, v3
	v_and_b32_e32 v1, v1, v9
	v_lshlrev_b32_e32 v9, 28, v0
	v_and_b32_e32 v2, v2, v3
	v_not_b32_e32 v3, v9
	v_cmp_gt_i64_e32 vcc, 0, v[8:9]
	v_ashrrev_i32_e32 v3, 31, v3
	v_xor_b32_e32 v9, vcc_hi, v3
	;; [unrolled: 8-line block ×5, first 2 shown]
	v_and_b32_e32 v1, v1, v9
	v_lshlrev_b32_e32 v9, 24, v0
	v_not_b32_e32 v0, v9
	v_xor_b32_e32 v3, vcc_lo, v3
	v_cmp_gt_i64_e32 vcc, 0, v[8:9]
	v_ashrrev_i32_e32 v0, 31, v0
	v_and_b32_e32 v2, v2, v3
	v_xor_b32_e32 v3, vcc_hi, v0
	v_xor_b32_e32 v0, vcc_lo, v0
	v_and_b32_e32 v0, v2, v0
	v_and_b32_e32 v1, v1, v3
	v_mbcnt_lo_u32_b32 v2, v0, 0
	v_mbcnt_hi_u32_b32 v51, v1, v2
	v_cmp_eq_u32_e32 vcc, 0, v51
	v_cmp_ne_u64_e64 s[36:37], 0, v[0:1]
	s_and_b64 s[48:49], s[36:37], vcc
	; wave barrier
	s_and_saveexec_b64 s[36:37], s[48:49]
	s_cbranch_execz .LBB41_7
; %bb.6:                                ;   in Loop: Header=BB41_3 Depth=1
	v_bcnt_u32_b32 v0, v0, 0
	v_bcnt_u32_b32 v0, v1, v0
	s_waitcnt lgkmcnt(0)
	v_add_u32_e32 v0, v49, v0
	ds_write_b32 v50, v0
.LBB41_7:                               ;   in Loop: Header=BB41_3 Depth=1
	s_or_b64 exec, exec, s[36:37]
	v_lshrrev_b32_e32 v0, s42, v44
	v_and_b32_e32 v0, s41, v0
	v_lshlrev_b32_e32 v1, 1, v0
	v_add_lshl_u32 v1, v1, v36, 2
	; wave barrier
	v_add_u32_e32 v53, 8, v1
	ds_read_b32 v52, v1 offset:8
	v_and_b32_e32 v1, 1, v0
	v_add_co_u32_e32 v2, vcc, -1, v1
	v_addc_co_u32_e64 v3, s[36:37], 0, -1, vcc
	v_cmp_ne_u32_e32 vcc, 0, v1
	v_lshlrev_b32_e32 v9, 30, v0
	v_xor_b32_e32 v1, vcc_hi, v3
	v_not_b32_e32 v3, v9
	v_xor_b32_e32 v2, vcc_lo, v2
	v_cmp_gt_i64_e32 vcc, 0, v[8:9]
	v_ashrrev_i32_e32 v3, 31, v3
	v_and_b32_e32 v1, exec_hi, v1
	v_xor_b32_e32 v9, vcc_hi, v3
	v_and_b32_e32 v2, exec_lo, v2
	v_xor_b32_e32 v3, vcc_lo, v3
	v_and_b32_e32 v1, v1, v9
	v_lshlrev_b32_e32 v9, 29, v0
	v_and_b32_e32 v2, v2, v3
	v_not_b32_e32 v3, v9
	v_cmp_gt_i64_e32 vcc, 0, v[8:9]
	v_ashrrev_i32_e32 v3, 31, v3
	v_xor_b32_e32 v9, vcc_hi, v3
	v_xor_b32_e32 v3, vcc_lo, v3
	v_and_b32_e32 v1, v1, v9
	v_lshlrev_b32_e32 v9, 28, v0
	v_and_b32_e32 v2, v2, v3
	v_not_b32_e32 v3, v9
	v_cmp_gt_i64_e32 vcc, 0, v[8:9]
	v_ashrrev_i32_e32 v3, 31, v3
	v_xor_b32_e32 v9, vcc_hi, v3
	;; [unrolled: 8-line block ×5, first 2 shown]
	v_and_b32_e32 v1, v1, v9
	v_lshlrev_b32_e32 v9, 24, v0
	v_not_b32_e32 v0, v9
	v_xor_b32_e32 v3, vcc_lo, v3
	v_cmp_gt_i64_e32 vcc, 0, v[8:9]
	v_ashrrev_i32_e32 v0, 31, v0
	v_and_b32_e32 v2, v2, v3
	v_xor_b32_e32 v3, vcc_hi, v0
	v_xor_b32_e32 v0, vcc_lo, v0
	v_and_b32_e32 v0, v2, v0
	v_and_b32_e32 v1, v1, v3
	v_mbcnt_lo_u32_b32 v2, v0, 0
	v_mbcnt_hi_u32_b32 v54, v1, v2
	v_cmp_eq_u32_e32 vcc, 0, v54
	v_cmp_ne_u64_e64 s[36:37], 0, v[0:1]
	s_and_b64 s[48:49], s[36:37], vcc
	; wave barrier
	s_and_saveexec_b64 s[36:37], s[48:49]
	s_cbranch_execz .LBB41_9
; %bb.8:                                ;   in Loop: Header=BB41_3 Depth=1
	v_bcnt_u32_b32 v0, v0, 0
	v_bcnt_u32_b32 v0, v1, v0
	s_waitcnt lgkmcnt(0)
	v_add_u32_e32 v0, v52, v0
	ds_write_b32 v53, v0
.LBB41_9:                               ;   in Loop: Header=BB41_3 Depth=1
	s_or_b64 exec, exec, s[36:37]
	v_lshrrev_b32_e32 v0, s42, v43
	v_and_b32_e32 v0, s41, v0
	v_lshlrev_b32_e32 v1, 1, v0
	v_add_lshl_u32 v1, v1, v36, 2
	; wave barrier
	v_add_u32_e32 v56, 8, v1
	ds_read_b32 v55, v1 offset:8
	v_and_b32_e32 v1, 1, v0
	v_add_co_u32_e32 v2, vcc, -1, v1
	v_addc_co_u32_e64 v3, s[36:37], 0, -1, vcc
	v_cmp_ne_u32_e32 vcc, 0, v1
	v_lshlrev_b32_e32 v9, 30, v0
	v_xor_b32_e32 v1, vcc_hi, v3
	v_not_b32_e32 v3, v9
	v_xor_b32_e32 v2, vcc_lo, v2
	v_cmp_gt_i64_e32 vcc, 0, v[8:9]
	v_ashrrev_i32_e32 v3, 31, v3
	v_and_b32_e32 v1, exec_hi, v1
	v_xor_b32_e32 v9, vcc_hi, v3
	v_and_b32_e32 v2, exec_lo, v2
	v_xor_b32_e32 v3, vcc_lo, v3
	v_and_b32_e32 v1, v1, v9
	v_lshlrev_b32_e32 v9, 29, v0
	v_and_b32_e32 v2, v2, v3
	v_not_b32_e32 v3, v9
	v_cmp_gt_i64_e32 vcc, 0, v[8:9]
	v_ashrrev_i32_e32 v3, 31, v3
	v_xor_b32_e32 v9, vcc_hi, v3
	v_xor_b32_e32 v3, vcc_lo, v3
	v_and_b32_e32 v1, v1, v9
	v_lshlrev_b32_e32 v9, 28, v0
	v_and_b32_e32 v2, v2, v3
	v_not_b32_e32 v3, v9
	v_cmp_gt_i64_e32 vcc, 0, v[8:9]
	v_ashrrev_i32_e32 v3, 31, v3
	v_xor_b32_e32 v9, vcc_hi, v3
	;; [unrolled: 8-line block ×5, first 2 shown]
	v_and_b32_e32 v1, v1, v9
	v_lshlrev_b32_e32 v9, 24, v0
	v_not_b32_e32 v0, v9
	v_xor_b32_e32 v3, vcc_lo, v3
	v_cmp_gt_i64_e32 vcc, 0, v[8:9]
	v_ashrrev_i32_e32 v0, 31, v0
	v_and_b32_e32 v2, v2, v3
	v_xor_b32_e32 v3, vcc_hi, v0
	v_xor_b32_e32 v0, vcc_lo, v0
	v_and_b32_e32 v0, v2, v0
	v_and_b32_e32 v1, v1, v3
	v_mbcnt_lo_u32_b32 v2, v0, 0
	v_mbcnt_hi_u32_b32 v9, v1, v2
	v_cmp_eq_u32_e32 vcc, 0, v9
	v_cmp_ne_u64_e64 s[36:37], 0, v[0:1]
	s_and_b64 s[48:49], s[36:37], vcc
	; wave barrier
	s_and_saveexec_b64 s[36:37], s[48:49]
	s_cbranch_execz .LBB41_11
; %bb.10:                               ;   in Loop: Header=BB41_3 Depth=1
	v_bcnt_u32_b32 v0, v0, 0
	v_bcnt_u32_b32 v0, v1, v0
	s_waitcnt lgkmcnt(0)
	v_add_u32_e32 v0, v55, v0
	ds_write_b32 v56, v0
.LBB41_11:                              ;   in Loop: Header=BB41_3 Depth=1
	s_or_b64 exec, exec, s[36:37]
	; wave barrier
	s_waitcnt lgkmcnt(0)
	s_barrier
	ds_read2_b64 v[0:3], v17 offset0:1 offset1:2
	s_waitcnt lgkmcnt(0)
	v_add_u32_e32 v57, v1, v0
	v_add3_u32 v3, v57, v2, v3
	s_nop 1
	v_mov_b32_dpp v57, v3 row_shr:1 row_mask:0xf bank_mask:0xf
	v_cndmask_b32_e64 v57, v57, 0, s[20:21]
	v_add_u32_e32 v3, v57, v3
	s_nop 1
	v_mov_b32_dpp v57, v3 row_shr:2 row_mask:0xf bank_mask:0xf
	v_cndmask_b32_e64 v57, 0, v57, s[22:23]
	v_add_u32_e32 v3, v3, v57
	;; [unrolled: 4-line block ×4, first 2 shown]
	s_nop 1
	v_mov_b32_dpp v57, v3 row_bcast:15 row_mask:0xf bank_mask:0xf
	v_cndmask_b32_e64 v57, v57, 0, s[28:29]
	v_add_u32_e32 v3, v3, v57
	s_nop 1
	v_mov_b32_dpp v57, v3 row_bcast:31 row_mask:0xf bank_mask:0xf
	v_cndmask_b32_e64 v57, 0, v57, s[10:11]
	v_add_u32_e32 v3, v3, v57
	s_and_saveexec_b64 s[36:37], s[30:31]
	s_cbranch_execz .LBB41_13
; %bb.12:                               ;   in Loop: Header=BB41_3 Depth=1
	ds_write_b32 v38, v3
.LBB41_13:                              ;   in Loop: Header=BB41_3 Depth=1
	s_or_b64 exec, exec, s[36:37]
	s_waitcnt lgkmcnt(0)
	s_barrier
	s_and_saveexec_b64 s[36:37], s[12:13]
	s_cbranch_execz .LBB41_15
; %bb.14:                               ;   in Loop: Header=BB41_3 Depth=1
	ds_read_b32 v57, v41
	s_waitcnt lgkmcnt(0)
	s_nop 0
	v_mov_b32_dpp v58, v57 row_shr:1 row_mask:0xf bank_mask:0xf
	v_cndmask_b32_e64 v58, v58, 0, s[34:35]
	v_add_u32_e32 v57, v58, v57
	ds_write_b32 v41, v57
.LBB41_15:                              ;   in Loop: Header=BB41_3 Depth=1
	s_or_b64 exec, exec, s[36:37]
	v_mov_b32_e32 v57, 0
	s_waitcnt lgkmcnt(0)
	s_barrier
	s_and_saveexec_b64 s[36:37], s[14:15]
	s_cbranch_execz .LBB41_17
; %bb.16:                               ;   in Loop: Header=BB41_3 Depth=1
	ds_read_b32 v57, v39
.LBB41_17:                              ;   in Loop: Header=BB41_3 Depth=1
	s_or_b64 exec, exec, s[36:37]
	s_waitcnt lgkmcnt(0)
	v_add_u32_e32 v3, v57, v3
	ds_bpermute_b32 v3, v37, v3
	s_add_i32 s42, s42, 8
	s_cmp_ge_u32 s42, s43
	s_waitcnt lgkmcnt(0)
	v_cndmask_b32_e64 v3, v3, v57, s[16:17]
	v_cndmask_b32_e64 v58, v3, 0, s[18:19]
	v_add_u32_e32 v59, v58, v0
	v_add_u32_e32 v0, v59, v1
	;; [unrolled: 1-line block ×3, first 2 shown]
	ds_write2_b64 v17, v[58:59], v[0:1] offset0:1 offset1:2
	s_waitcnt lgkmcnt(0)
	s_barrier
	ds_read_b32 v0, v47
	ds_read_b32 v1, v50
	ds_read_b32 v2, v53
	ds_read_b32 v3, v56
	s_waitcnt lgkmcnt(0)
	v_add_u32_e32 v0, v0, v48
	v_add3_u32 v48, v51, v49, v1
	v_add3_u32 v47, v54, v52, v2
	;; [unrolled: 1-line block ×3, first 2 shown]
	v_lshlrev_b32_e32 v53, 2, v0
	v_lshlrev_b32_e32 v0, 1, v0
	;; [unrolled: 1-line block ×5, first 2 shown]
	v_sub_u32_e32 v54, 0, v0
	s_cbranch_scc0 .LBB41_2
; %bb.18:
                                        ; implicit-def: $vgpr3
                                        ; implicit-def: $vgpr1
                                        ; implicit-def: $vgpr55
                                        ; implicit-def: $vgpr50
                                        ; implicit-def: $sgpr39
.LBB41_19:
	v_add_u32_e32 v8, v53, v54
	s_barrier
	ds_write_b32 v53, v46
	ds_write_b32 v52, v45
	;; [unrolled: 1-line block ×4, first 2 shown]
	s_waitcnt lgkmcnt(0)
	s_barrier
	ds_read2_b64 v[0:3], v17 offset1:1
	s_waitcnt lgkmcnt(0)
	s_barrier
	ds_write_b16 v8, v6
	v_lshlrev_b32_e32 v8, 1, v48
	v_sub_u32_e32 v8, v52, v8
	ds_write_b16_d16_hi v8, v6
	v_lshlrev_b32_e32 v6, 1, v47
	v_sub_u32_e32 v6, v51, v6
	ds_write_b16 v6, v5
	v_lshlrev_b32_e32 v6, 1, v9
	v_sub_u32_e32 v6, v49, v6
	v_or_b32_e32 v38, 1, v16
	v_or_b32_e32 v37, 2, v16
	;; [unrolled: 1-line block ×3, first 2 shown]
	ds_write_b16_d16_hi v6, v5
	s_waitcnt lgkmcnt(0)
	s_barrier
	s_mov_b64 s[10:11], 0
	s_branch .LBB41_21
.LBB41_20:
	s_mov_b64 s[10:11], -1
                                        ; implicit-def: $vgpr2_vgpr3
                                        ; implicit-def: $vgpr36
                                        ; implicit-def: $vgpr37
                                        ; implicit-def: $vgpr38
.LBB41_21:
	v_add_co_u32_e32 v8, vcc, s38, v7
	v_addc_co_u32_e32 v9, vcc, 0, v35, vcc
	v_add_co_u32_e32 v6, vcc, s40, v28
	v_addc_co_u32_e32 v7, vcc, 0, v34, vcc
	s_and_b64 vcc, exec, s[10:11]
	s_cbranch_vccz .LBB41_41
; %bb.22:
	ds_bpermute_b32 v0, v27, v32
	ds_bpermute_b32 v1, v27, v33
	;; [unrolled: 1-line block ×6, first 2 shown]
	s_waitcnt lgkmcnt(4)
	v_cndmask_b32_e64 v0, v0, v1, s[6:7]
	s_waitcnt lgkmcnt(3)
	v_cndmask_b32_e64 v0, v0, v2, s[2:3]
	ds_bpermute_b32 v2, v26, v31
	s_waitcnt lgkmcnt(3)
	v_cndmask_b32_e64 v0, v0, v3, s[0:1]
	s_waitcnt lgkmcnt(1)
	v_cndmask_b32_e64 v1, v5, v28, s[6:7]
	ds_bpermute_b32 v3, v26, v30
	v_xor_b32_e32 v5, 0x80, v27
	ds_bpermute_b32 v28, v5, v32
	ds_bpermute_b32 v34, v5, v33
	s_waitcnt lgkmcnt(3)
	v_cndmask_b32_e64 v1, v1, v2, s[2:3]
	s_waitcnt lgkmcnt(2)
	v_cndmask_b32_e64 v1, v1, v3, s[0:1]
	v_and_or_b32 v3, v29, 63, v11
	ds_bpermute_b32 v35, v5, v31
	s_waitcnt lgkmcnt(1)
	v_cndmask_b32_e64 v2, v28, v34, s[6:7]
	v_lshlrev_b32_e32 v28, 2, v3
	ds_bpermute_b32 v3, v28, v32
	ds_bpermute_b32 v29, v28, v33
	;; [unrolled: 1-line block ×7, first 2 shown]
	s_waitcnt lgkmcnt(5)
	v_cndmask_b32_e64 v3, v3, v29, s[6:7]
	ds_bpermute_b32 v29, v27, v23
	ds_bpermute_b32 v27, v27, v22
	s_waitcnt lgkmcnt(6)
	v_cndmask_b32_e64 v3, v3, v31, s[2:3]
	s_waitcnt lgkmcnt(4)
	v_cndmask_b32_e64 v3, v3, v30, s[0:1]
	;; [unrolled: 2-line block ×3, first 2 shown]
	s_mov_b32 s10, 0xffff
	s_waitcnt lgkmcnt(1)
	v_bfi_b32 v29, s10, v29, v30
	v_cndmask_b32_e64 v29, v30, v29, s[2:3]
	ds_bpermute_b32 v30, v26, v25
	s_waitcnt lgkmcnt(1)
	v_bfi_b32 v27, s10, v27, v29
	v_cndmask_b32_e64 v27, v29, v27, s[0:1]
	ds_bpermute_b32 v29, v26, v24
	s_mov_b32 s28, 0x5040100
	ds_bpermute_b32 v31, v26, v23
	s_waitcnt lgkmcnt(2)
	v_perm_b32 v30, v30, v27, s28
	v_cndmask_b32_e64 v27, v27, v30, s[8:9]
	ds_bpermute_b32 v26, v26, v22
	s_waitcnt lgkmcnt(2)
	v_perm_b32 v29, v29, v27, s28
	v_cndmask_b32_e64 v27, v27, v29, s[6:7]
	s_waitcnt lgkmcnt(1)
	v_perm_b32 v29, v31, v27, s28
	v_cndmask_b32_e64 v27, v27, v29, s[2:3]
	ds_bpermute_b32 v29, v5, v25
	ds_bpermute_b32 v30, v5, v24
	s_waitcnt lgkmcnt(2)
	v_perm_b32 v26, v26, v27, s28
	v_cndmask_b32_e64 v31, v27, v26, s[0:1]
	ds_bpermute_b32 v26, v5, v23
	ds_bpermute_b32 v5, v5, v22
	s_waitcnt lgkmcnt(3)
	v_and_b32_e32 v27, 0xffff, v29
	s_waitcnt lgkmcnt(2)
	v_and_b32_e32 v29, 0xffff, v30
	v_cndmask_b32_e64 v27, v27, v29, s[6:7]
	ds_bpermute_b32 v25, v28, v25
	s_waitcnt lgkmcnt(2)
	v_bfi_b32 v26, s10, v26, v27
	v_cndmask_b32_e64 v26, v27, v26, s[2:3]
	ds_bpermute_b32 v24, v28, v24
	s_waitcnt lgkmcnt(2)
	v_bfi_b32 v5, s10, v5, v26
	v_cndmask_b32_e64 v5, v26, v5, s[0:1]
	ds_bpermute_b32 v23, v28, v23
	s_waitcnt lgkmcnt(2)
	v_perm_b32 v25, v25, v5, s28
	v_cndmask_b32_e64 v5, v5, v25, s[8:9]
	ds_bpermute_b32 v22, v28, v22
	s_waitcnt lgkmcnt(2)
	v_perm_b32 v24, v24, v5, s28
	s_waitcnt lgkmcnt(0)
	s_barrier
	s_load_dword s4, s[4:5], 0x24
	v_cndmask_b32_e64 v5, v5, v24, s[6:7]
	v_perm_b32 v23, v23, v5, s28
	v_cndmask_b32_e64 v5, v5, v23, s[2:3]
	v_cndmask_b32_e64 v2, v2, v35, s[2:3]
	v_perm_b32 v22, v22, v5, s28
	v_cndmask_b32_e64 v2, v2, v36, s[0:1]
	v_cndmask_b32_e64 v33, v5, v22, s[0:1]
	s_waitcnt lgkmcnt(0)
	s_lshr_b32 s0, s4, 16
	s_and_b32 s1, s4, 0xffff
	v_mad_u32_u24 v5, v21, s0, v18
	v_mad_u64_u32 v[22:23], s[0:1], v5, s1, v[4:5]
	v_and_b32_e32 v5, 0x3c0, v4
	v_min_u32_e32 v5, 64, v5
	v_or_b32_e32 v5, 63, v5
	s_movk_i32 s24, 0xf00
	v_cmp_eq_u32_e64 s[12:13], v5, v4
	v_cmp_gt_u32_e64 s[14:15], 2, v4
	v_cmp_lt_u32_e64 s[16:17], 63, v4
	v_cmp_eq_u32_e64 s[20:21], 0, v4
	v_and_or_b32 v4, v16, s24, v10
	v_lshrrev_b32_e32 v18, 6, v22
	s_mov_b32 s26, 0
	v_cmp_lt_i32_e32 vcc, v13, v11
	v_lshlrev_b32_e32 v22, 2, v4
	v_lshlrev_b32_e32 v4, 1, v4
	v_cmp_eq_u32_e64 s[8:9], 0, v20
	v_cndmask_b32_e32 v5, v13, v10, vcc
	v_and_b32_e32 v20, 60, v12
	v_sub_u32_e32 v4, 0, v4
	s_mov_b32 s27, s26
	s_mov_b32 s24, s26
	;; [unrolled: 1-line block ×3, first 2 shown]
	v_cmp_eq_u32_e64 s[0:1], 0, v19
	v_cmp_lt_u32_e64 s[2:3], 1, v19
	v_cmp_lt_u32_e64 s[4:5], 3, v19
	;; [unrolled: 1-line block ×4, first 2 shown]
	v_lshlrev_b32_e32 v19, 2, v5
	v_cmp_eq_u32_e64 s[18:19], 0, v10
	v_cmp_eq_u32_e64 s[22:23], 0, v15
	v_add_u32_e32 v21, -4, v20
	v_pk_mov_b32 v[10:11], s[26:27], s[26:27] op_sel:[0,1]
	v_pk_mov_b32 v[12:13], s[24:25], s[24:25] op_sel:[0,1]
	v_add_u32_e32 v24, v17, v14
	v_add_u32_e32 v26, v22, v4
	v_mov_b32_e32 v14, 0
	s_branch .LBB41_24
.LBB41_23:                              ;   in Loop: Header=BB41_24 Depth=1
	v_lshlrev_b32_e32 v31, 2, v32
	v_lshlrev_b32_e32 v36, 1, v32
	s_barrier
	ds_write_b32 v31, v28
	v_lshlrev_b32_e32 v33, 2, v30
	v_lshlrev_b32_e32 v34, 2, v15
	;; [unrolled: 1-line block ×3, first 2 shown]
	v_sub_u32_e32 v31, v31, v36
	ds_write_b32 v33, v27
	ds_write_b32 v34, v25
	;; [unrolled: 1-line block ×3, first 2 shown]
	s_waitcnt lgkmcnt(0)
	s_barrier
	ds_read2st64_b32 v[0:1], v22 offset1:1
	ds_read2st64_b32 v[2:3], v22 offset0:2 offset1:3
	s_waitcnt lgkmcnt(0)
	s_barrier
	ds_write_b16 v31, v4
	v_lshlrev_b32_e32 v31, 1, v30
	v_sub_u32_e32 v31, v33, v31
	ds_write_b16_d16_hi v31, v4
	v_lshlrev_b32_e32 v31, 1, v15
	v_sub_u32_e32 v31, v34, v31
	ds_write_b16 v31, v5
	v_lshlrev_b32_e32 v31, 1, v29
	v_sub_u32_e32 v31, v35, v31
	ds_write_b16_d16_hi v31, v5
	s_waitcnt lgkmcnt(0)
	s_barrier
	ds_read_u16 v31, v26
	ds_read_u16 v33, v26 offset:128
	ds_read_u16 v34, v26 offset:256
	;; [unrolled: 1-line block ×3, first 2 shown]
	s_add_i32 s26, s26, 8
	s_waitcnt lgkmcnt(2)
	v_perm_b32 v31, v33, v31, s28
	s_waitcnt lgkmcnt(0)
	v_perm_b32 v33, v35, v34, s28
	s_barrier
	s_cbranch_execz .LBB41_40
.LBB41_24:                              ; =>This Inner Loop Header: Depth=1
	v_mov_b32_e32 v28, v0
	v_mov_b32_e32 v27, v1
	v_bfe_u32 v1, v28, s26, 8
	v_lshl_add_u32 v1, v1, 1, v18
	v_lshl_add_u32 v29, v1, 2, 8
	v_bfe_u32 v1, v28, s26, 1
	v_mov_b32_e32 v25, v2
	v_lshrrev_b32_e32 v0, s26, v28
	v_add_co_u32_e32 v2, vcc, -1, v1
	v_mov_b32_e32 v23, v3
	v_addc_co_u32_e64 v3, s[24:25], 0, -1, vcc
	v_cmp_ne_u32_e32 vcc, 0, v1
	v_lshlrev_b32_e32 v15, 30, v0
	v_xor_b32_e32 v1, vcc_hi, v3
	v_not_b32_e32 v3, v15
	v_xor_b32_e32 v2, vcc_lo, v2
	v_cmp_gt_i64_e32 vcc, 0, v[14:15]
	v_ashrrev_i32_e32 v3, 31, v3
	v_and_b32_e32 v1, exec_hi, v1
	v_xor_b32_e32 v15, vcc_hi, v3
	v_and_b32_e32 v2, exec_lo, v2
	v_xor_b32_e32 v3, vcc_lo, v3
	v_and_b32_e32 v1, v1, v15
	v_lshlrev_b32_e32 v15, 29, v0
	v_and_b32_e32 v2, v2, v3
	v_not_b32_e32 v3, v15
	v_cmp_gt_i64_e32 vcc, 0, v[14:15]
	v_ashrrev_i32_e32 v3, 31, v3
	v_xor_b32_e32 v15, vcc_hi, v3
	v_xor_b32_e32 v3, vcc_lo, v3
	v_and_b32_e32 v1, v1, v15
	v_lshlrev_b32_e32 v15, 28, v0
	v_and_b32_e32 v2, v2, v3
	v_not_b32_e32 v3, v15
	v_cmp_gt_i64_e32 vcc, 0, v[14:15]
	v_ashrrev_i32_e32 v3, 31, v3
	v_xor_b32_e32 v15, vcc_hi, v3
	v_xor_b32_e32 v3, vcc_lo, v3
	v_and_b32_e32 v1, v1, v15
	v_lshlrev_b32_e32 v15, 27, v0
	v_and_b32_e32 v2, v2, v3
	v_not_b32_e32 v3, v15
	v_cmp_gt_i64_e32 vcc, 0, v[14:15]
	v_ashrrev_i32_e32 v3, 31, v3
	v_xor_b32_e32 v15, vcc_hi, v3
	v_xor_b32_e32 v3, vcc_lo, v3
	v_and_b32_e32 v1, v1, v15
	v_lshlrev_b32_e32 v15, 26, v0
	v_and_b32_e32 v2, v2, v3
	v_not_b32_e32 v3, v15
	v_cmp_gt_i64_e32 vcc, 0, v[14:15]
	v_ashrrev_i32_e32 v3, 31, v3
	v_xor_b32_e32 v15, vcc_hi, v3
	v_xor_b32_e32 v3, vcc_lo, v3
	v_and_b32_e32 v1, v1, v15
	v_lshlrev_b32_e32 v15, 25, v0
	v_and_b32_e32 v2, v2, v3
	v_not_b32_e32 v3, v15
	v_cmp_gt_i64_e32 vcc, 0, v[14:15]
	v_ashrrev_i32_e32 v3, 31, v3
	v_xor_b32_e32 v15, vcc_hi, v3
	v_and_b32_e32 v1, v1, v15
	v_lshlrev_b32_e32 v15, 24, v0
	v_not_b32_e32 v0, v15
	v_xor_b32_e32 v3, vcc_lo, v3
	v_cmp_gt_i64_e32 vcc, 0, v[14:15]
	v_ashrrev_i32_e32 v0, 31, v0
	v_and_b32_e32 v2, v2, v3
	v_xor_b32_e32 v3, vcc_hi, v0
	v_xor_b32_e32 v0, vcc_lo, v0
	v_and_b32_e32 v0, v2, v0
	v_and_b32_e32 v1, v1, v3
	v_mbcnt_lo_u32_b32 v2, v0, 0
	v_mbcnt_hi_u32_b32 v30, v1, v2
	v_cmp_eq_u32_e32 vcc, 0, v30
	v_cmp_ne_u64_e64 s[24:25], 0, v[0:1]
	v_mov_b32_e32 v5, v33
	v_mov_b32_e32 v4, v31
	s_and_b64 s[30:31], s[24:25], vcc
	ds_write2_b64 v17, v[10:11], v[12:13] offset0:1 offset1:2
	s_waitcnt lgkmcnt(0)
	s_barrier
	s_waitcnt lgkmcnt(0)
	; wave barrier
	s_and_saveexec_b64 s[24:25], s[30:31]
	s_cbranch_execz .LBB41_26
; %bb.25:                               ;   in Loop: Header=BB41_24 Depth=1
	v_bcnt_u32_b32 v0, v0, 0
	v_bcnt_u32_b32 v0, v1, v0
	ds_write_b32 v29, v0
.LBB41_26:                              ;   in Loop: Header=BB41_24 Depth=1
	s_or_b64 exec, exec, s[24:25]
	v_bfe_u32 v1, v27, s26, 8
	v_lshlrev_b32_e32 v1, 1, v1
	v_add_lshl_u32 v1, v1, v18, 2
	; wave barrier
	v_add_u32_e32 v32, 8, v1
	ds_read_b32 v31, v1 offset:8
	v_bfe_u32 v1, v27, s26, 1
	v_lshrrev_b32_e32 v0, s26, v27
	v_add_co_u32_e32 v2, vcc, -1, v1
	v_addc_co_u32_e64 v3, s[24:25], 0, -1, vcc
	v_cmp_ne_u32_e32 vcc, 0, v1
	v_lshlrev_b32_e32 v15, 30, v0
	v_xor_b32_e32 v1, vcc_hi, v3
	v_not_b32_e32 v3, v15
	v_xor_b32_e32 v2, vcc_lo, v2
	v_cmp_gt_i64_e32 vcc, 0, v[14:15]
	v_ashrrev_i32_e32 v3, 31, v3
	v_and_b32_e32 v1, exec_hi, v1
	v_xor_b32_e32 v15, vcc_hi, v3
	v_and_b32_e32 v2, exec_lo, v2
	v_xor_b32_e32 v3, vcc_lo, v3
	v_and_b32_e32 v1, v1, v15
	v_lshlrev_b32_e32 v15, 29, v0
	v_and_b32_e32 v2, v2, v3
	v_not_b32_e32 v3, v15
	v_cmp_gt_i64_e32 vcc, 0, v[14:15]
	v_ashrrev_i32_e32 v3, 31, v3
	v_xor_b32_e32 v15, vcc_hi, v3
	v_xor_b32_e32 v3, vcc_lo, v3
	v_and_b32_e32 v1, v1, v15
	v_lshlrev_b32_e32 v15, 28, v0
	v_and_b32_e32 v2, v2, v3
	v_not_b32_e32 v3, v15
	v_cmp_gt_i64_e32 vcc, 0, v[14:15]
	v_ashrrev_i32_e32 v3, 31, v3
	v_xor_b32_e32 v15, vcc_hi, v3
	;; [unrolled: 8-line block ×5, first 2 shown]
	v_and_b32_e32 v1, v1, v15
	v_lshlrev_b32_e32 v15, 24, v0
	v_not_b32_e32 v0, v15
	v_xor_b32_e32 v3, vcc_lo, v3
	v_cmp_gt_i64_e32 vcc, 0, v[14:15]
	v_ashrrev_i32_e32 v0, 31, v0
	v_and_b32_e32 v2, v2, v3
	v_xor_b32_e32 v3, vcc_hi, v0
	v_xor_b32_e32 v0, vcc_lo, v0
	v_and_b32_e32 v0, v2, v0
	v_and_b32_e32 v1, v1, v3
	v_mbcnt_lo_u32_b32 v2, v0, 0
	v_mbcnt_hi_u32_b32 v33, v1, v2
	v_cmp_eq_u32_e32 vcc, 0, v33
	v_cmp_ne_u64_e64 s[24:25], 0, v[0:1]
	s_and_b64 s[30:31], s[24:25], vcc
	; wave barrier
	s_and_saveexec_b64 s[24:25], s[30:31]
	s_cbranch_execz .LBB41_28
; %bb.27:                               ;   in Loop: Header=BB41_24 Depth=1
	v_bcnt_u32_b32 v0, v0, 0
	v_bcnt_u32_b32 v0, v1, v0
	s_waitcnt lgkmcnt(0)
	v_add_u32_e32 v0, v31, v0
	ds_write_b32 v32, v0
.LBB41_28:                              ;   in Loop: Header=BB41_24 Depth=1
	s_or_b64 exec, exec, s[24:25]
	v_bfe_u32 v1, v25, s26, 8
	v_lshlrev_b32_e32 v1, 1, v1
	v_add_lshl_u32 v1, v1, v18, 2
	; wave barrier
	v_add_u32_e32 v35, 8, v1
	ds_read_b32 v34, v1 offset:8
	v_bfe_u32 v1, v25, s26, 1
	v_lshrrev_b32_e32 v0, s26, v25
	v_add_co_u32_e32 v2, vcc, -1, v1
	v_addc_co_u32_e64 v3, s[24:25], 0, -1, vcc
	v_cmp_ne_u32_e32 vcc, 0, v1
	v_lshlrev_b32_e32 v15, 30, v0
	v_xor_b32_e32 v1, vcc_hi, v3
	v_not_b32_e32 v3, v15
	v_xor_b32_e32 v2, vcc_lo, v2
	v_cmp_gt_i64_e32 vcc, 0, v[14:15]
	v_ashrrev_i32_e32 v3, 31, v3
	v_and_b32_e32 v1, exec_hi, v1
	v_xor_b32_e32 v15, vcc_hi, v3
	v_and_b32_e32 v2, exec_lo, v2
	v_xor_b32_e32 v3, vcc_lo, v3
	v_and_b32_e32 v1, v1, v15
	v_lshlrev_b32_e32 v15, 29, v0
	v_and_b32_e32 v2, v2, v3
	v_not_b32_e32 v3, v15
	v_cmp_gt_i64_e32 vcc, 0, v[14:15]
	v_ashrrev_i32_e32 v3, 31, v3
	v_xor_b32_e32 v15, vcc_hi, v3
	v_xor_b32_e32 v3, vcc_lo, v3
	v_and_b32_e32 v1, v1, v15
	v_lshlrev_b32_e32 v15, 28, v0
	v_and_b32_e32 v2, v2, v3
	v_not_b32_e32 v3, v15
	v_cmp_gt_i64_e32 vcc, 0, v[14:15]
	v_ashrrev_i32_e32 v3, 31, v3
	v_xor_b32_e32 v15, vcc_hi, v3
	;; [unrolled: 8-line block ×5, first 2 shown]
	v_and_b32_e32 v1, v1, v15
	v_lshlrev_b32_e32 v15, 24, v0
	v_not_b32_e32 v0, v15
	v_xor_b32_e32 v3, vcc_lo, v3
	v_cmp_gt_i64_e32 vcc, 0, v[14:15]
	v_ashrrev_i32_e32 v0, 31, v0
	v_and_b32_e32 v2, v2, v3
	v_xor_b32_e32 v3, vcc_hi, v0
	v_xor_b32_e32 v0, vcc_lo, v0
	v_and_b32_e32 v0, v2, v0
	v_and_b32_e32 v1, v1, v3
	v_mbcnt_lo_u32_b32 v2, v0, 0
	v_mbcnt_hi_u32_b32 v36, v1, v2
	v_cmp_eq_u32_e32 vcc, 0, v36
	v_cmp_ne_u64_e64 s[24:25], 0, v[0:1]
	s_and_b64 s[30:31], s[24:25], vcc
	; wave barrier
	s_and_saveexec_b64 s[24:25], s[30:31]
	s_cbranch_execz .LBB41_30
; %bb.29:                               ;   in Loop: Header=BB41_24 Depth=1
	v_bcnt_u32_b32 v0, v0, 0
	v_bcnt_u32_b32 v0, v1, v0
	s_waitcnt lgkmcnt(0)
	v_add_u32_e32 v0, v34, v0
	ds_write_b32 v35, v0
.LBB41_30:                              ;   in Loop: Header=BB41_24 Depth=1
	s_or_b64 exec, exec, s[24:25]
	v_bfe_u32 v1, v23, s26, 8
	v_lshlrev_b32_e32 v1, 1, v1
	v_add_lshl_u32 v1, v1, v18, 2
	; wave barrier
	v_add_u32_e32 v38, 8, v1
	ds_read_b32 v37, v1 offset:8
	v_bfe_u32 v1, v23, s26, 1
	v_lshrrev_b32_e32 v0, s26, v23
	v_add_co_u32_e32 v2, vcc, -1, v1
	v_addc_co_u32_e64 v3, s[24:25], 0, -1, vcc
	v_cmp_ne_u32_e32 vcc, 0, v1
	v_lshlrev_b32_e32 v15, 30, v0
	v_xor_b32_e32 v1, vcc_hi, v3
	v_not_b32_e32 v3, v15
	v_xor_b32_e32 v2, vcc_lo, v2
	v_cmp_gt_i64_e32 vcc, 0, v[14:15]
	v_ashrrev_i32_e32 v3, 31, v3
	v_and_b32_e32 v1, exec_hi, v1
	v_xor_b32_e32 v15, vcc_hi, v3
	v_and_b32_e32 v2, exec_lo, v2
	v_xor_b32_e32 v3, vcc_lo, v3
	v_and_b32_e32 v1, v1, v15
	v_lshlrev_b32_e32 v15, 29, v0
	v_and_b32_e32 v2, v2, v3
	v_not_b32_e32 v3, v15
	v_cmp_gt_i64_e32 vcc, 0, v[14:15]
	v_ashrrev_i32_e32 v3, 31, v3
	v_xor_b32_e32 v15, vcc_hi, v3
	v_xor_b32_e32 v3, vcc_lo, v3
	v_and_b32_e32 v1, v1, v15
	v_lshlrev_b32_e32 v15, 28, v0
	v_and_b32_e32 v2, v2, v3
	v_not_b32_e32 v3, v15
	v_cmp_gt_i64_e32 vcc, 0, v[14:15]
	v_ashrrev_i32_e32 v3, 31, v3
	v_xor_b32_e32 v15, vcc_hi, v3
	;; [unrolled: 8-line block ×5, first 2 shown]
	v_and_b32_e32 v1, v1, v15
	v_lshlrev_b32_e32 v15, 24, v0
	v_not_b32_e32 v0, v15
	v_xor_b32_e32 v3, vcc_lo, v3
	v_cmp_gt_i64_e32 vcc, 0, v[14:15]
	v_ashrrev_i32_e32 v0, 31, v0
	v_and_b32_e32 v2, v2, v3
	v_xor_b32_e32 v3, vcc_hi, v0
	v_xor_b32_e32 v0, vcc_lo, v0
	v_and_b32_e32 v0, v2, v0
	v_and_b32_e32 v1, v1, v3
	v_mbcnt_lo_u32_b32 v2, v0, 0
	v_mbcnt_hi_u32_b32 v39, v1, v2
	v_cmp_eq_u32_e32 vcc, 0, v39
	v_cmp_ne_u64_e64 s[24:25], 0, v[0:1]
	s_and_b64 s[30:31], s[24:25], vcc
	; wave barrier
	s_and_saveexec_b64 s[24:25], s[30:31]
	s_cbranch_execz .LBB41_32
; %bb.31:                               ;   in Loop: Header=BB41_24 Depth=1
	v_bcnt_u32_b32 v0, v0, 0
	v_bcnt_u32_b32 v0, v1, v0
	s_waitcnt lgkmcnt(0)
	v_add_u32_e32 v0, v37, v0
	ds_write_b32 v38, v0
.LBB41_32:                              ;   in Loop: Header=BB41_24 Depth=1
	s_or_b64 exec, exec, s[24:25]
	; wave barrier
	s_waitcnt lgkmcnt(0)
	s_barrier
	ds_read2_b64 v[0:3], v17 offset0:1 offset1:2
	s_waitcnt lgkmcnt(0)
	v_add_u32_e32 v15, v1, v0
	v_add3_u32 v3, v15, v2, v3
	s_nop 1
	v_mov_b32_dpp v15, v3 row_shr:1 row_mask:0xf bank_mask:0xf
	v_cndmask_b32_e64 v15, v15, 0, s[0:1]
	v_add_u32_e32 v3, v15, v3
	s_nop 1
	v_mov_b32_dpp v15, v3 row_shr:2 row_mask:0xf bank_mask:0xf
	v_cndmask_b32_e64 v15, 0, v15, s[2:3]
	v_add_u32_e32 v3, v3, v15
	;; [unrolled: 4-line block ×4, first 2 shown]
	s_nop 1
	v_mov_b32_dpp v15, v3 row_bcast:15 row_mask:0xf bank_mask:0xf
	v_cndmask_b32_e64 v15, v15, 0, s[8:9]
	v_add_u32_e32 v3, v3, v15
	s_nop 1
	v_mov_b32_dpp v15, v3 row_bcast:31 row_mask:0xf bank_mask:0xf
	v_cndmask_b32_e64 v15, 0, v15, s[10:11]
	v_add_u32_e32 v3, v3, v15
	s_and_saveexec_b64 s[24:25], s[12:13]
	s_cbranch_execz .LBB41_34
; %bb.33:                               ;   in Loop: Header=BB41_24 Depth=1
	ds_write_b32 v20, v3
.LBB41_34:                              ;   in Loop: Header=BB41_24 Depth=1
	s_or_b64 exec, exec, s[24:25]
	s_waitcnt lgkmcnt(0)
	s_barrier
	s_and_saveexec_b64 s[24:25], s[14:15]
	s_cbranch_execz .LBB41_36
; %bb.35:                               ;   in Loop: Header=BB41_24 Depth=1
	ds_read_b32 v15, v24
	s_waitcnt lgkmcnt(0)
	s_nop 0
	v_mov_b32_dpp v40, v15 row_shr:1 row_mask:0xf bank_mask:0xf
	v_cndmask_b32_e64 v40, v40, 0, s[22:23]
	v_add_u32_e32 v15, v40, v15
	ds_write_b32 v24, v15
.LBB41_36:                              ;   in Loop: Header=BB41_24 Depth=1
	s_or_b64 exec, exec, s[24:25]
	v_mov_b32_e32 v15, 0
	s_waitcnt lgkmcnt(0)
	s_barrier
	s_and_saveexec_b64 s[24:25], s[16:17]
	s_cbranch_execz .LBB41_38
; %bb.37:                               ;   in Loop: Header=BB41_24 Depth=1
	ds_read_b32 v15, v21
.LBB41_38:                              ;   in Loop: Header=BB41_24 Depth=1
	s_or_b64 exec, exec, s[24:25]
	s_waitcnt lgkmcnt(0)
	v_add_u32_e32 v3, v15, v3
	ds_bpermute_b32 v3, v19, v3
	s_cmp_gt_u32 s26, 23
	s_waitcnt lgkmcnt(0)
	v_cndmask_b32_e64 v3, v3, v15, s[18:19]
	v_cndmask_b32_e64 v40, v3, 0, s[20:21]
	v_add_u32_e32 v41, v40, v0
	v_add_u32_e32 v0, v41, v1
	;; [unrolled: 1-line block ×3, first 2 shown]
	ds_write2_b64 v17, v[40:41], v[0:1] offset0:1 offset1:2
	s_waitcnt lgkmcnt(0)
	s_barrier
	ds_read_b32 v0, v29
	ds_read_b32 v1, v32
	;; [unrolled: 1-line block ×4, first 2 shown]
	s_waitcnt lgkmcnt(3)
	v_add_u32_e32 v32, v0, v30
	s_waitcnt lgkmcnt(2)
	v_add3_u32 v30, v33, v31, v1
	s_waitcnt lgkmcnt(1)
	v_add3_u32 v15, v36, v34, v2
	;; [unrolled: 2-line block ×3, first 2 shown]
	s_cbranch_scc0 .LBB41_23
; %bb.39:
                                        ; implicit-def: $vgpr3
                                        ; implicit-def: $vgpr1
                                        ; implicit-def: $vgpr33
                                        ; implicit-def: $vgpr31
                                        ; implicit-def: $sgpr26
.LBB41_40:
	v_lshlrev_b32_e32 v10, 2, v32
	v_lshlrev_b32_e32 v14, 1, v32
	s_barrier
	ds_write_b32 v10, v28
	v_lshlrev_b32_e32 v11, 2, v30
	v_lshlrev_b32_e32 v12, 2, v15
	;; [unrolled: 1-line block ×3, first 2 shown]
	v_sub_u32_e32 v10, v10, v14
	ds_write_b32 v11, v27
	ds_write_b32 v12, v25
	;; [unrolled: 1-line block ×3, first 2 shown]
	s_waitcnt lgkmcnt(0)
	s_barrier
	ds_read2_b64 v[0:3], v17 offset1:1
	s_waitcnt lgkmcnt(0)
	s_barrier
	ds_write_b16 v10, v4
	v_lshlrev_b32_e32 v10, 1, v30
	v_sub_u32_e32 v10, v11, v10
	ds_write_b16_d16_hi v10, v4
	v_lshlrev_b32_e32 v4, 1, v15
	v_sub_u32_e32 v4, v12, v4
	ds_write_b16 v4, v5
	v_lshlrev_b32_e32 v4, 1, v29
	v_sub_u32_e32 v4, v13, v4
	v_or_b32_e32 v38, 1, v16
	v_or_b32_e32 v37, 2, v16
	;; [unrolled: 1-line block ×3, first 2 shown]
	ds_write_b16_d16_hi v4, v5
	s_waitcnt lgkmcnt(0)
	s_barrier
.LBB41_41:
	v_lshlrev_b32_e32 v4, 1, v16
	v_lshlrev_b32_e32 v5, 1, v38
	;; [unrolled: 1-line block ×4, first 2 shown]
	ds_read_u16 v4, v4
	ds_read_u16 v5, v5
	;; [unrolled: 1-line block ×4, first 2 shown]
	v_xor_b32_e32 v1, 0x80000000, v1
	v_xor_b32_e32 v0, 0x80000000, v0
	;; [unrolled: 1-line block ×4, first 2 shown]
	s_mov_b32 s0, 0x5040100
	global_store_dwordx4 v[8:9], v[0:3], off
	s_waitcnt lgkmcnt(0)
	v_perm_b32 v1, v11, v10, s0
	v_perm_b32 v0, v5, v4, s0
	global_store_dwordx2 v[6:7], v[0:1], off
	s_endpgm
	.section	.rodata,"a",@progbits
	.p2align	6, 0x0
	.amdhsa_kernel _Z21sort_key_value_kernelILj128ELj4ELb0ELb0EisEvPT3_PT4_jj
		.amdhsa_group_segment_fixed_size 2064
		.amdhsa_private_segment_fixed_size 0
		.amdhsa_kernarg_size 280
		.amdhsa_user_sgpr_count 6
		.amdhsa_user_sgpr_private_segment_buffer 1
		.amdhsa_user_sgpr_dispatch_ptr 0
		.amdhsa_user_sgpr_queue_ptr 0
		.amdhsa_user_sgpr_kernarg_segment_ptr 1
		.amdhsa_user_sgpr_dispatch_id 0
		.amdhsa_user_sgpr_flat_scratch_init 0
		.amdhsa_user_sgpr_kernarg_preload_length 0
		.amdhsa_user_sgpr_kernarg_preload_offset 0
		.amdhsa_user_sgpr_private_segment_size 0
		.amdhsa_uses_dynamic_stack 0
		.amdhsa_system_sgpr_private_segment_wavefront_offset 0
		.amdhsa_system_sgpr_workgroup_id_x 1
		.amdhsa_system_sgpr_workgroup_id_y 0
		.amdhsa_system_sgpr_workgroup_id_z 0
		.amdhsa_system_sgpr_workgroup_info 0
		.amdhsa_system_vgpr_workitem_id 2
		.amdhsa_next_free_vgpr 60
		.amdhsa_next_free_sgpr 50
		.amdhsa_accum_offset 60
		.amdhsa_reserve_vcc 1
		.amdhsa_reserve_flat_scratch 0
		.amdhsa_float_round_mode_32 0
		.amdhsa_float_round_mode_16_64 0
		.amdhsa_float_denorm_mode_32 3
		.amdhsa_float_denorm_mode_16_64 3
		.amdhsa_dx10_clamp 1
		.amdhsa_ieee_mode 1
		.amdhsa_fp16_overflow 0
		.amdhsa_tg_split 0
		.amdhsa_exception_fp_ieee_invalid_op 0
		.amdhsa_exception_fp_denorm_src 0
		.amdhsa_exception_fp_ieee_div_zero 0
		.amdhsa_exception_fp_ieee_overflow 0
		.amdhsa_exception_fp_ieee_underflow 0
		.amdhsa_exception_fp_ieee_inexact 0
		.amdhsa_exception_int_div_zero 0
	.end_amdhsa_kernel
	.section	.text._Z21sort_key_value_kernelILj128ELj4ELb0ELb0EisEvPT3_PT4_jj,"axG",@progbits,_Z21sort_key_value_kernelILj128ELj4ELb0ELb0EisEvPT3_PT4_jj,comdat
.Lfunc_end41:
	.size	_Z21sort_key_value_kernelILj128ELj4ELb0ELb0EisEvPT3_PT4_jj, .Lfunc_end41-_Z21sort_key_value_kernelILj128ELj4ELb0ELb0EisEvPT3_PT4_jj
                                        ; -- End function
	.section	.AMDGPU.csdata,"",@progbits
; Kernel info:
; codeLenInByte = 7072
; NumSgprs: 54
; NumVgprs: 60
; NumAgprs: 0
; TotalNumVgprs: 60
; ScratchSize: 0
; MemoryBound: 0
; FloatMode: 240
; IeeeMode: 1
; LDSByteSize: 2064 bytes/workgroup (compile time only)
; SGPRBlocks: 6
; VGPRBlocks: 7
; NumSGPRsForWavesPerEU: 54
; NumVGPRsForWavesPerEU: 60
; AccumOffset: 60
; Occupancy: 8
; WaveLimiterHint : 0
; COMPUTE_PGM_RSRC2:SCRATCH_EN: 0
; COMPUTE_PGM_RSRC2:USER_SGPR: 6
; COMPUTE_PGM_RSRC2:TRAP_HANDLER: 0
; COMPUTE_PGM_RSRC2:TGID_X_EN: 1
; COMPUTE_PGM_RSRC2:TGID_Y_EN: 0
; COMPUTE_PGM_RSRC2:TGID_Z_EN: 0
; COMPUTE_PGM_RSRC2:TIDIG_COMP_CNT: 2
; COMPUTE_PGM_RSRC3_GFX90A:ACCUM_OFFSET: 14
; COMPUTE_PGM_RSRC3_GFX90A:TG_SPLIT: 0
	.section	.text._Z21sort_key_value_kernelILj64ELj2ELb0ELb1EfcEvPT3_PT4_jj,"axG",@progbits,_Z21sort_key_value_kernelILj64ELj2ELb0ELb1EfcEvPT3_PT4_jj,comdat
	.protected	_Z21sort_key_value_kernelILj64ELj2ELb0ELb1EfcEvPT3_PT4_jj ; -- Begin function _Z21sort_key_value_kernelILj64ELj2ELb0ELb1EfcEvPT3_PT4_jj
	.globl	_Z21sort_key_value_kernelILj64ELj2ELb0ELb1EfcEvPT3_PT4_jj
	.p2align	8
	.type	_Z21sort_key_value_kernelILj64ELj2ELb0ELb1EfcEvPT3_PT4_jj,@function
_Z21sort_key_value_kernelILj64ELj2ELb0ELb1EfcEvPT3_PT4_jj: ; @_Z21sort_key_value_kernelILj64ELj2ELb0ELb1EfcEvPT3_PT4_jj
; %bb.0:
	s_load_dwordx4 s[0:3], s[4:5], 0x0
	s_load_dwordx2 s[26:27], s[4:5], 0x10
	s_lshl_b32 s6, s6, 7
	s_mov_b32 s7, 0
	s_lshl_b64 s[8:9], s[6:7], 2
	v_and_b32_e32 v2, 0x3ff, v0
	s_waitcnt lgkmcnt(0)
	s_add_u32 s22, s0, s8
	s_addc_u32 s23, s1, s9
	v_lshlrev_b32_e32 v16, 3, v2
	global_load_dwordx2 v[4:5], v16, s[22:23]
	s_add_u32 s24, s2, s6
	v_lshlrev_b32_e32 v10, 1, v2
	s_addc_u32 s25, s3, 0
	global_load_ushort v1, v10, s[24:25]
	s_cmp_lg_u32 s26, 0
	v_mbcnt_lo_u32_b32 v3, -1, 0
	s_cselect_b64 s[8:9], -1, 0
	s_cmp_lg_u32 s27, 32
	v_mbcnt_hi_u32_b32 v3, -1, v3
	s_cselect_b64 s[10:11], -1, 0
	v_bfe_u32 v14, v0, 10, 10
	v_bfe_u32 v15, v0, 20, 10
	v_lshrrev_b32_e32 v0, 1, v3
	s_or_b64 s[8:9], s[8:9], s[10:11]
	v_bfrev_b32_e32 v21, -2
	v_and_or_b32 v0, v3, 64, v0
	s_and_b64 vcc, exec, s[8:9]
	v_and_b32_e32 v6, 1, v3
	v_lshlrev_b32_e32 v18, 2, v0
	v_cmp_eq_u32_e64 s[0:1], 0, v6
	v_lshlrev_b32_e32 v11, 4, v2
	v_and_b32_e32 v9, 15, v3
	v_and_b32_e32 v12, 16, v3
	v_cmp_lt_u32_e64 s[2:3], 31, v3
	v_cmp_eq_u32_e64 s[6:7], 63, v2
	v_add_u32_e32 v8, -1, v3
	v_and_b32_e32 v13, 64, v3
	v_cmp_eq_u32_e64 s[18:19], 0, v3
	v_cmp_eq_u32_e64 s[20:21], 0, v2
	v_xor_b32_e32 v17, 0x80, v18
	v_mov_b32_e32 v25, s23
	v_mov_b32_e32 v22, s25
	s_waitcnt vmcnt(1)
	v_cmp_gt_i32_e64 s[8:9], 0, v4
	v_cndmask_b32_e64 v0, v21, 0, s[8:9]
	v_cmp_gt_i32_e64 s[8:9], 0, v5
	v_cndmask_b32_e64 v6, v21, 0, s[8:9]
	v_xor_b32_e32 v23, v0, v4
	v_xor_b32_e32 v24, v6, v5
	s_waitcnt vmcnt(0)
	v_and_b32_e32 v20, 0xff, v1
	v_lshrrev_b16_e32 v19, 8, v1
	s_cbranch_vccz .LBB42_12
; %bb.1:
	ds_bpermute_b32 v0, v18, v23
	ds_bpermute_b32 v1, v18, v24
	ds_bpermute_b32 v5, v17, v23
	ds_bpermute_b32 v6, v17, v24
	ds_bpermute_b32 v7, v18, v20
	ds_bpermute_b32 v26, v18, v19
	s_waitcnt lgkmcnt(4)
	v_cndmask_b32_e64 v4, v1, v0, s[0:1]
	ds_bpermute_b32 v0, v17, v20
	s_waitcnt lgkmcnt(3)
	v_cndmask_b32_e64 v5, v6, v5, s[0:1]
	s_waitcnt lgkmcnt(2)
	v_and_b32_e32 v1, 0xff, v7
	s_waitcnt lgkmcnt(1)
	v_and_b32_e32 v6, 0xff, v26
	v_cndmask_b32_e64 v1, v6, v1, s[0:1]
	s_waitcnt lgkmcnt(0)
	v_lshlrev_b16_e32 v0, 8, v0
	v_or_b32_e32 v0, v1, v0
	ds_bpermute_b32 v1, v17, v19
	s_waitcnt lgkmcnt(0)
	; wave barrier
	s_waitcnt lgkmcnt(0)
	s_load_dword s8, s[4:5], 0x24
	v_cndmask_b32_e64 v6, v6, v0, s[0:1]
	v_lshlrev_b16_e32 v1, 8, v1
	v_or_b32_sdwa v1, v6, v1 dst_sel:DWORD dst_unused:UNUSED_PAD src0_sel:BYTE_0 src1_sel:DWORD
	v_cndmask_b32_e64 v0, v1, v0, s[0:1]
	s_waitcnt lgkmcnt(0)
	s_lshr_b32 s9, s8, 16
	v_and_b32_e32 v35, 0xffff, v0
	s_and_b32 s8, s8, 0xffff
	v_mad_u32_u24 v0, v15, s9, v14
	v_mad_u64_u32 v[0:1], s[8:9], v0, s8, v[2:3]
	v_cmp_lt_i32_e32 vcc, v8, v13
	s_or_b64 s[20:21], s[20:21], s[18:19]
	s_movk_i32 s18, 0x780
	v_lshrrev_b32_e32 v27, 6, v0
	v_cndmask_b32_e32 v0, v8, v3, vcc
	v_and_or_b32 v29, v10, s18, v3
	v_or_b32_e32 v26, 4, v11
	v_cmp_eq_u32_e64 s[8:9], 0, v9
	v_cmp_lt_u32_e64 s[10:11], 1, v9
	v_cmp_lt_u32_e64 s[12:13], 3, v9
	;; [unrolled: 1-line block ×3, first 2 shown]
	v_cmp_eq_u32_e64 s[16:17], 0, v12
	v_lshlrev_b32_e32 v28, 2, v0
	v_lshlrev_b32_e32 v31, 2, v29
	s_sub_i32 s25, s27, s26
	v_mov_b32_e32 v0, 0
	s_brev_b32 s23, 1
	s_branch .LBB42_3
.LBB42_2:                               ;   in Loop: Header=BB42_3 Depth=1
	v_lshrrev_b16_e32 v35, 8, v30
	; wave barrier
	ds_write_b32 v6, v33
	ds_write_b32 v7, v32
	s_waitcnt lgkmcnt(0)
	; wave barrier
	s_waitcnt lgkmcnt(0)
	ds_read2st64_b32 v[4:5], v31 offset1:1
	s_waitcnt lgkmcnt(0)
	; wave barrier
	s_waitcnt lgkmcnt(0)
	ds_write_b8 v34, v30
	ds_write_b8 v1, v35
	s_waitcnt lgkmcnt(0)
	; wave barrier
	s_waitcnt lgkmcnt(0)
	ds_read_u8 v35, v29 offset:64
	ds_read_u8 v36, v29
	s_add_i32 s25, s25, -8
	s_waitcnt lgkmcnt(0)
	v_lshlrev_b16_e32 v35, 8, v35
	v_or_b32_e32 v35, v36, v35
	v_and_b32_e32 v35, 0xffff, v35
	; wave barrier
	s_cbranch_execz .LBB42_11
.LBB42_3:                               ; =>This Inner Loop Header: Depth=1
	v_mov_b32_e32 v33, v4
	s_min_u32 s18, s25, 8
	v_cmp_ne_u32_e32 vcc, s23, v33
	s_lshl_b32 s18, -1, s18
	v_cndmask_b32_e32 v1, v21, v33, vcc
	s_not_b32 s28, s18
	v_lshrrev_b32_e32 v1, s26, v1
	v_and_b32_e32 v4, s28, v1
	v_add_u32_e32 v1, v4, v27
	v_lshl_add_u32 v34, v1, 2, 4
	v_and_b32_e32 v1, 1, v4
	v_mov_b32_e32 v32, v5
	v_add_co_u32_e32 v5, vcc, -1, v1
	v_addc_co_u32_e64 v6, s[18:19], 0, -1, vcc
	v_cmp_ne_u32_e32 vcc, 0, v1
	v_xor_b32_e32 v1, vcc_hi, v6
	v_and_b32_e32 v6, exec_hi, v1
	v_lshlrev_b32_e32 v1, 30, v4
	v_xor_b32_e32 v5, vcc_lo, v5
	v_cmp_gt_i64_e32 vcc, 0, v[0:1]
	v_not_b32_e32 v1, v1
	v_ashrrev_i32_e32 v1, 31, v1
	v_and_b32_e32 v5, exec_lo, v5
	v_xor_b32_e32 v7, vcc_hi, v1
	v_xor_b32_e32 v1, vcc_lo, v1
	v_and_b32_e32 v5, v5, v1
	v_lshlrev_b32_e32 v1, 29, v4
	v_cmp_gt_i64_e32 vcc, 0, v[0:1]
	v_not_b32_e32 v1, v1
	v_ashrrev_i32_e32 v1, 31, v1
	v_and_b32_e32 v6, v6, v7
	v_xor_b32_e32 v7, vcc_hi, v1
	v_xor_b32_e32 v1, vcc_lo, v1
	v_and_b32_e32 v5, v5, v1
	v_lshlrev_b32_e32 v1, 28, v4
	v_cmp_gt_i64_e32 vcc, 0, v[0:1]
	v_not_b32_e32 v1, v1
	v_ashrrev_i32_e32 v1, 31, v1
	v_and_b32_e32 v6, v6, v7
	;; [unrolled: 8-line block ×5, first 2 shown]
	v_xor_b32_e32 v7, vcc_hi, v1
	v_xor_b32_e32 v1, vcc_lo, v1
	v_and_b32_e32 v6, v6, v7
	v_and_b32_e32 v7, v5, v1
	v_lshlrev_b32_e32 v1, 24, v4
	v_cmp_gt_i64_e32 vcc, 0, v[0:1]
	v_not_b32_e32 v1, v1
	v_ashrrev_i32_e32 v1, 31, v1
	v_xor_b32_e32 v4, vcc_hi, v1
	v_xor_b32_e32 v1, vcc_lo, v1
	v_and_b32_e32 v5, v6, v4
	v_and_b32_e32 v4, v7, v1
	v_mbcnt_lo_u32_b32 v1, v4, 0
	v_mov_b32_e32 v30, v35
	v_mbcnt_hi_u32_b32 v35, v5, v1
	v_cmp_eq_u32_e32 vcc, 0, v35
	v_cmp_ne_u64_e64 s[18:19], 0, v[4:5]
	s_and_b64 s[30:31], s[18:19], vcc
	ds_write2_b32 v11, v0, v0 offset0:1 offset1:2
	ds_write2_b32 v26, v0, v0 offset0:2 offset1:3
	s_waitcnt lgkmcnt(0)
	; wave barrier
	s_waitcnt lgkmcnt(0)
	; wave barrier
	s_and_saveexec_b64 s[18:19], s[30:31]
	s_cbranch_execz .LBB42_5
; %bb.4:                                ;   in Loop: Header=BB42_3 Depth=1
	v_bcnt_u32_b32 v1, v4, 0
	v_bcnt_u32_b32 v1, v5, v1
	ds_write_b32 v34, v1
.LBB42_5:                               ;   in Loop: Header=BB42_3 Depth=1
	s_or_b64 exec, exec, s[18:19]
	v_cmp_ne_u32_e32 vcc, s23, v32
	v_cndmask_b32_e32 v1, v21, v32, vcc
	v_lshrrev_b32_e32 v1, s26, v1
	v_and_b32_e32 v4, s28, v1
	v_add_lshl_u32 v1, v4, v27, 2
	; wave barrier
	v_add_u32_e32 v37, 4, v1
	ds_read_b32 v36, v1 offset:4
	v_and_b32_e32 v1, 1, v4
	v_add_co_u32_e32 v5, vcc, -1, v1
	v_addc_co_u32_e64 v6, s[18:19], 0, -1, vcc
	v_cmp_ne_u32_e32 vcc, 0, v1
	v_xor_b32_e32 v1, vcc_hi, v6
	v_and_b32_e32 v6, exec_hi, v1
	v_lshlrev_b32_e32 v1, 30, v4
	v_xor_b32_e32 v5, vcc_lo, v5
	v_cmp_gt_i64_e32 vcc, 0, v[0:1]
	v_not_b32_e32 v1, v1
	v_ashrrev_i32_e32 v1, 31, v1
	v_and_b32_e32 v5, exec_lo, v5
	v_xor_b32_e32 v7, vcc_hi, v1
	v_xor_b32_e32 v1, vcc_lo, v1
	v_and_b32_e32 v5, v5, v1
	v_lshlrev_b32_e32 v1, 29, v4
	v_cmp_gt_i64_e32 vcc, 0, v[0:1]
	v_not_b32_e32 v1, v1
	v_ashrrev_i32_e32 v1, 31, v1
	v_and_b32_e32 v6, v6, v7
	v_xor_b32_e32 v7, vcc_hi, v1
	v_xor_b32_e32 v1, vcc_lo, v1
	v_and_b32_e32 v5, v5, v1
	v_lshlrev_b32_e32 v1, 28, v4
	v_cmp_gt_i64_e32 vcc, 0, v[0:1]
	v_not_b32_e32 v1, v1
	v_ashrrev_i32_e32 v1, 31, v1
	v_and_b32_e32 v6, v6, v7
	;; [unrolled: 8-line block ×5, first 2 shown]
	v_xor_b32_e32 v7, vcc_hi, v1
	v_xor_b32_e32 v1, vcc_lo, v1
	v_and_b32_e32 v6, v6, v7
	v_and_b32_e32 v7, v5, v1
	v_lshlrev_b32_e32 v1, 24, v4
	v_cmp_gt_i64_e32 vcc, 0, v[0:1]
	v_not_b32_e32 v1, v1
	v_ashrrev_i32_e32 v1, 31, v1
	v_xor_b32_e32 v4, vcc_hi, v1
	v_xor_b32_e32 v1, vcc_lo, v1
	v_and_b32_e32 v5, v6, v4
	v_and_b32_e32 v4, v7, v1
	v_mbcnt_lo_u32_b32 v1, v4, 0
	v_mbcnt_hi_u32_b32 v1, v5, v1
	v_cmp_eq_u32_e32 vcc, 0, v1
	v_cmp_ne_u64_e64 s[18:19], 0, v[4:5]
	s_and_b64 s[28:29], s[18:19], vcc
	; wave barrier
	s_and_saveexec_b64 s[18:19], s[28:29]
	s_cbranch_execz .LBB42_7
; %bb.6:                                ;   in Loop: Header=BB42_3 Depth=1
	v_bcnt_u32_b32 v4, v4, 0
	v_bcnt_u32_b32 v4, v5, v4
	s_waitcnt lgkmcnt(0)
	v_add_u32_e32 v4, v36, v4
	ds_write_b32 v37, v4
.LBB42_7:                               ;   in Loop: Header=BB42_3 Depth=1
	s_or_b64 exec, exec, s[18:19]
	; wave barrier
	s_waitcnt lgkmcnt(0)
	; wave barrier
	s_waitcnt lgkmcnt(0)
	ds_read2_b32 v[6:7], v11 offset0:1 offset1:2
	ds_read2_b32 v[4:5], v26 offset0:2 offset1:3
	s_waitcnt lgkmcnt(1)
	v_add_u32_e32 v38, v7, v6
	s_waitcnt lgkmcnt(0)
	v_add3_u32 v5, v38, v4, v5
	s_nop 1
	v_mov_b32_dpp v38, v5 row_shr:1 row_mask:0xf bank_mask:0xf
	v_cndmask_b32_e64 v38, v38, 0, s[8:9]
	v_add_u32_e32 v5, v38, v5
	s_nop 1
	v_mov_b32_dpp v38, v5 row_shr:2 row_mask:0xf bank_mask:0xf
	v_cndmask_b32_e64 v38, 0, v38, s[10:11]
	v_add_u32_e32 v5, v5, v38
	;; [unrolled: 4-line block ×4, first 2 shown]
	s_nop 1
	v_mov_b32_dpp v38, v5 row_bcast:15 row_mask:0xf bank_mask:0xf
	v_cndmask_b32_e64 v38, v38, 0, s[16:17]
	v_add_u32_e32 v5, v5, v38
	s_nop 1
	v_mov_b32_dpp v38, v5 row_bcast:31 row_mask:0xf bank_mask:0xf
	v_cndmask_b32_e64 v38, 0, v38, s[2:3]
	v_add_u32_e32 v5, v5, v38
	s_and_saveexec_b64 s[18:19], s[6:7]
	s_cbranch_execz .LBB42_9
; %bb.8:                                ;   in Loop: Header=BB42_3 Depth=1
	ds_write_b32 v0, v5
.LBB42_9:                               ;   in Loop: Header=BB42_3 Depth=1
	s_or_b64 exec, exec, s[18:19]
	ds_bpermute_b32 v5, v28, v5
	s_waitcnt lgkmcnt(0)
	; wave barrier
	s_waitcnt lgkmcnt(0)
	s_add_i32 s26, s26, 8
	s_cmp_ge_u32 s26, s27
	v_cndmask_b32_e64 v5, v5, 0, s[20:21]
	v_add_u32_e32 v6, v5, v6
	v_add_u32_e32 v7, v6, v7
	v_add_u32_e32 v4, v7, v4
	ds_write2_b32 v11, v5, v6 offset0:1 offset1:2
	ds_write2_b32 v26, v7, v4 offset0:2 offset1:3
	s_waitcnt lgkmcnt(0)
	; wave barrier
	s_waitcnt lgkmcnt(0)
	ds_read_b32 v4, v34
	ds_read_b32 v5, v37
	s_waitcnt lgkmcnt(0)
	v_add_u32_e32 v34, v4, v35
	v_add3_u32 v1, v1, v36, v5
	v_lshlrev_b32_e32 v6, 2, v34
	v_lshlrev_b32_e32 v7, 2, v1
	s_cbranch_scc0 .LBB42_2
; %bb.10:
                                        ; implicit-def: $vgpr5
                                        ; implicit-def: $vgpr35
                                        ; implicit-def: $sgpr25
.LBB42_11:
	v_lshlrev_b32_e32 v0, 2, v10
	; wave barrier
	ds_write_b32 v6, v33
	ds_write_b32 v7, v32
	s_waitcnt lgkmcnt(0)
	; wave barrier
	s_waitcnt lgkmcnt(0)
	ds_read_b64 v[6:7], v0
	v_lshrrev_b16_e32 v0, 8, v30
	s_waitcnt lgkmcnt(0)
	; wave barrier
	s_waitcnt lgkmcnt(0)
	ds_write_b8 v34, v30
	ds_write_b8 v1, v0
	s_waitcnt lgkmcnt(0)
	; wave barrier
	s_mov_b64 s[2:3], 0
	s_branch .LBB42_13
.LBB42_12:
	s_mov_b64 s[2:3], -1
                                        ; implicit-def: $vgpr6_vgpr7
.LBB42_13:
	v_add_co_u32_e32 v0, vcc, s22, v16
	v_addc_co_u32_e32 v1, vcc, 0, v25, vcc
	v_add_co_u32_e32 v4, vcc, s24, v10
	v_addc_co_u32_e32 v5, vcc, 0, v22, vcc
	s_and_b64 vcc, exec, s[2:3]
	s_cbranch_vccz .LBB42_25
; %bb.14:
	ds_bpermute_b32 v6, v18, v23
	ds_bpermute_b32 v7, v18, v24
	;; [unrolled: 1-line block ×8, first 2 shown]
	s_waitcnt lgkmcnt(6)
	v_cndmask_b32_e64 v6, v7, v6, s[0:1]
	s_waitcnt lgkmcnt(4)
	v_cndmask_b32_e64 v7, v21, v16, s[0:1]
	s_waitcnt lgkmcnt(3)
	v_and_b32_e32 v16, 0xff, v22
	s_waitcnt lgkmcnt(2)
	v_and_b32_e32 v18, 0xff, v18
	s_waitcnt lgkmcnt(0)
	; wave barrier
	s_waitcnt lgkmcnt(0)
	s_load_dword s2, s[4:5], 0x24
	v_cndmask_b32_e64 v16, v18, v16, s[0:1]
	v_lshlrev_b16_e32 v20, 8, v20
	v_or_b32_e32 v16, v16, v20
	v_cndmask_b32_e64 v18, v18, v16, s[0:1]
	v_lshlrev_b16_e32 v17, 8, v17
	v_or_b32_sdwa v17, v18, v17 dst_sel:DWORD dst_unused:UNUSED_PAD src0_sel:BYTE_0 src1_sel:DWORD
	v_cndmask_b32_e64 v16, v17, v16, s[0:1]
	s_waitcnt lgkmcnt(0)
	s_lshr_b32 s0, s2, 16
	v_cmp_lt_i32_e32 vcc, v8, v13
	s_and_b32 s1, s2, 0xffff
	v_mad_u32_u24 v14, v15, s0, v14
	v_cndmask_b32_e32 v8, v8, v3, vcc
	v_cmp_eq_u32_e32 vcc, 0, v3
	v_cmp_eq_u32_e64 s[14:15], 0, v2
	v_and_b32_e32 v21, 0xffff, v16
	v_mad_u64_u32 v[16:17], s[0:1], v14, s1, v[2:3]
	s_or_b64 s[16:17], s[14:15], vcc
	s_movk_i32 s14, 0x780
	v_lshrrev_b32_e32 v15, 6, v16
	v_and_or_b32 v16, v10, s14, v3
	v_or_b32_e32 v14, 4, v11
	s_mov_b32 s18, 0
	v_cmp_eq_u32_e64 s[0:1], 0, v9
	v_cmp_lt_u32_e64 s[2:3], 1, v9
	v_cmp_lt_u32_e64 s[4:5], 3, v9
	;; [unrolled: 1-line block ×3, first 2 shown]
	v_cmp_eq_u32_e64 s[8:9], 0, v12
	v_cmp_lt_u32_e64 s[10:11], 31, v3
	v_cmp_eq_u32_e64 s[12:13], 63, v2
	v_lshlrev_b32_e32 v12, 2, v8
	v_lshlrev_b32_e32 v17, 2, v16
	v_mov_b32_e32 v2, 0
	s_brev_b32 s19, 1
	v_bfrev_b32_e32 v19, -2
	s_branch .LBB42_16
.LBB42_15:                              ;   in Loop: Header=BB42_16 Depth=1
	v_lshlrev_b32_e32 v6, 2, v8
	s_waitcnt lgkmcnt(0)
	; wave barrier
	ds_write_b32 v6, v20
	v_lshlrev_b32_e32 v6, 2, v3
	v_lshrrev_b16_e32 v9, 8, v13
	ds_write_b32 v6, v18
	s_waitcnt lgkmcnt(0)
	; wave barrier
	s_waitcnt lgkmcnt(0)
	ds_read2st64_b32 v[6:7], v17 offset1:1
	s_waitcnt lgkmcnt(0)
	; wave barrier
	s_waitcnt lgkmcnt(0)
	ds_write_b8 v8, v13
	ds_write_b8 v3, v9
	s_waitcnt lgkmcnt(0)
	; wave barrier
	s_waitcnt lgkmcnt(0)
	ds_read_u8 v9, v16 offset:64
	ds_read_u8 v21, v16
	s_add_i32 s18, s18, 8
	s_waitcnt lgkmcnt(0)
	v_lshlrev_b16_e32 v9, 8, v9
	v_or_b32_e32 v9, v21, v9
	v_and_b32_e32 v21, 0xffff, v9
	; wave barrier
	s_cbranch_execz .LBB42_24
.LBB42_16:                              ; =>This Inner Loop Header: Depth=1
	v_mov_b32_e32 v20, v6
	v_cmp_ne_u32_e32 vcc, s19, v20
	v_cndmask_b32_e32 v3, v19, v20, vcc
	v_mov_b32_e32 v18, v7
	v_bfe_u32 v7, v3, s18, 8
	v_lshrrev_b32_e32 v6, s18, v3
	v_add_u32_e32 v7, v7, v15
	v_bfe_u32 v3, v3, s18, 1
	v_mov_b32_e32 v13, v21
	v_lshl_add_u32 v21, v7, 2, 4
	v_add_co_u32_e32 v7, vcc, -1, v3
	v_addc_co_u32_e64 v8, s[14:15], 0, -1, vcc
	v_cmp_ne_u32_e32 vcc, 0, v3
	v_xor_b32_e32 v3, vcc_hi, v8
	v_and_b32_e32 v8, exec_hi, v3
	v_lshlrev_b32_e32 v3, 30, v6
	v_xor_b32_e32 v7, vcc_lo, v7
	v_cmp_gt_i64_e32 vcc, 0, v[2:3]
	v_not_b32_e32 v3, v3
	v_ashrrev_i32_e32 v3, 31, v3
	v_and_b32_e32 v7, exec_lo, v7
	v_xor_b32_e32 v9, vcc_hi, v3
	v_xor_b32_e32 v3, vcc_lo, v3
	v_and_b32_e32 v7, v7, v3
	v_lshlrev_b32_e32 v3, 29, v6
	v_cmp_gt_i64_e32 vcc, 0, v[2:3]
	v_not_b32_e32 v3, v3
	v_ashrrev_i32_e32 v3, 31, v3
	v_and_b32_e32 v8, v8, v9
	v_xor_b32_e32 v9, vcc_hi, v3
	v_xor_b32_e32 v3, vcc_lo, v3
	v_and_b32_e32 v7, v7, v3
	v_lshlrev_b32_e32 v3, 28, v6
	v_cmp_gt_i64_e32 vcc, 0, v[2:3]
	v_not_b32_e32 v3, v3
	v_ashrrev_i32_e32 v3, 31, v3
	v_and_b32_e32 v8, v8, v9
	;; [unrolled: 8-line block ×5, first 2 shown]
	v_xor_b32_e32 v9, vcc_hi, v3
	v_xor_b32_e32 v3, vcc_lo, v3
	v_and_b32_e32 v8, v8, v9
	v_and_b32_e32 v9, v7, v3
	v_lshlrev_b32_e32 v3, 24, v6
	v_cmp_gt_i64_e32 vcc, 0, v[2:3]
	v_not_b32_e32 v3, v3
	v_ashrrev_i32_e32 v3, 31, v3
	v_xor_b32_e32 v6, vcc_hi, v3
	v_xor_b32_e32 v3, vcc_lo, v3
	v_and_b32_e32 v7, v8, v6
	v_and_b32_e32 v6, v9, v3
	v_mbcnt_lo_u32_b32 v3, v6, 0
	v_mbcnt_hi_u32_b32 v22, v7, v3
	v_cmp_eq_u32_e32 vcc, 0, v22
	v_cmp_ne_u64_e64 s[14:15], 0, v[6:7]
	s_and_b64 s[20:21], s[14:15], vcc
	ds_write2_b32 v11, v2, v2 offset0:1 offset1:2
	ds_write2_b32 v14, v2, v2 offset0:2 offset1:3
	s_waitcnt lgkmcnt(0)
	; wave barrier
	s_waitcnt lgkmcnt(0)
	; wave barrier
	s_and_saveexec_b64 s[14:15], s[20:21]
	s_cbranch_execz .LBB42_18
; %bb.17:                               ;   in Loop: Header=BB42_16 Depth=1
	v_bcnt_u32_b32 v3, v6, 0
	v_bcnt_u32_b32 v3, v7, v3
	ds_write_b32 v21, v3
.LBB42_18:                              ;   in Loop: Header=BB42_16 Depth=1
	s_or_b64 exec, exec, s[14:15]
	v_cmp_ne_u32_e32 vcc, s19, v18
	v_cndmask_b32_e32 v3, v19, v18, vcc
	v_bfe_u32 v7, v3, s18, 8
	v_lshrrev_b32_e32 v6, s18, v3
	v_add_lshl_u32 v7, v7, v15, 2
	v_bfe_u32 v3, v3, s18, 1
	; wave barrier
	v_add_u32_e32 v24, 4, v7
	ds_read_b32 v23, v7 offset:4
	v_add_co_u32_e32 v7, vcc, -1, v3
	v_addc_co_u32_e64 v8, s[14:15], 0, -1, vcc
	v_cmp_ne_u32_e32 vcc, 0, v3
	v_xor_b32_e32 v3, vcc_hi, v8
	v_and_b32_e32 v8, exec_hi, v3
	v_lshlrev_b32_e32 v3, 30, v6
	v_xor_b32_e32 v7, vcc_lo, v7
	v_cmp_gt_i64_e32 vcc, 0, v[2:3]
	v_not_b32_e32 v3, v3
	v_ashrrev_i32_e32 v3, 31, v3
	v_and_b32_e32 v7, exec_lo, v7
	v_xor_b32_e32 v9, vcc_hi, v3
	v_xor_b32_e32 v3, vcc_lo, v3
	v_and_b32_e32 v7, v7, v3
	v_lshlrev_b32_e32 v3, 29, v6
	v_cmp_gt_i64_e32 vcc, 0, v[2:3]
	v_not_b32_e32 v3, v3
	v_ashrrev_i32_e32 v3, 31, v3
	v_and_b32_e32 v8, v8, v9
	v_xor_b32_e32 v9, vcc_hi, v3
	v_xor_b32_e32 v3, vcc_lo, v3
	v_and_b32_e32 v7, v7, v3
	v_lshlrev_b32_e32 v3, 28, v6
	v_cmp_gt_i64_e32 vcc, 0, v[2:3]
	v_not_b32_e32 v3, v3
	v_ashrrev_i32_e32 v3, 31, v3
	v_and_b32_e32 v8, v8, v9
	;; [unrolled: 8-line block ×5, first 2 shown]
	v_xor_b32_e32 v9, vcc_hi, v3
	v_xor_b32_e32 v3, vcc_lo, v3
	v_and_b32_e32 v8, v8, v9
	v_and_b32_e32 v9, v7, v3
	v_lshlrev_b32_e32 v3, 24, v6
	v_cmp_gt_i64_e32 vcc, 0, v[2:3]
	v_not_b32_e32 v3, v3
	v_ashrrev_i32_e32 v3, 31, v3
	v_xor_b32_e32 v6, vcc_hi, v3
	v_xor_b32_e32 v3, vcc_lo, v3
	v_and_b32_e32 v7, v8, v6
	v_and_b32_e32 v6, v9, v3
	v_mbcnt_lo_u32_b32 v3, v6, 0
	v_mbcnt_hi_u32_b32 v3, v7, v3
	v_cmp_eq_u32_e32 vcc, 0, v3
	v_cmp_ne_u64_e64 s[14:15], 0, v[6:7]
	s_and_b64 s[20:21], s[14:15], vcc
	; wave barrier
	s_and_saveexec_b64 s[14:15], s[20:21]
	s_cbranch_execz .LBB42_20
; %bb.19:                               ;   in Loop: Header=BB42_16 Depth=1
	v_bcnt_u32_b32 v6, v6, 0
	v_bcnt_u32_b32 v6, v7, v6
	s_waitcnt lgkmcnt(0)
	v_add_u32_e32 v6, v23, v6
	ds_write_b32 v24, v6
.LBB42_20:                              ;   in Loop: Header=BB42_16 Depth=1
	s_or_b64 exec, exec, s[14:15]
	; wave barrier
	s_waitcnt lgkmcnt(0)
	; wave barrier
	s_waitcnt lgkmcnt(0)
	ds_read2_b32 v[8:9], v11 offset0:1 offset1:2
	ds_read2_b32 v[6:7], v14 offset0:2 offset1:3
	s_waitcnt lgkmcnt(1)
	v_add_u32_e32 v25, v9, v8
	s_waitcnt lgkmcnt(0)
	v_add3_u32 v7, v25, v6, v7
	s_nop 1
	v_mov_b32_dpp v25, v7 row_shr:1 row_mask:0xf bank_mask:0xf
	v_cndmask_b32_e64 v25, v25, 0, s[0:1]
	v_add_u32_e32 v7, v25, v7
	s_nop 1
	v_mov_b32_dpp v25, v7 row_shr:2 row_mask:0xf bank_mask:0xf
	v_cndmask_b32_e64 v25, 0, v25, s[2:3]
	v_add_u32_e32 v7, v7, v25
	;; [unrolled: 4-line block ×4, first 2 shown]
	s_nop 1
	v_mov_b32_dpp v25, v7 row_bcast:15 row_mask:0xf bank_mask:0xf
	v_cndmask_b32_e64 v25, v25, 0, s[8:9]
	v_add_u32_e32 v7, v7, v25
	s_nop 1
	v_mov_b32_dpp v25, v7 row_bcast:31 row_mask:0xf bank_mask:0xf
	v_cndmask_b32_e64 v25, 0, v25, s[10:11]
	v_add_u32_e32 v7, v7, v25
	s_and_saveexec_b64 s[14:15], s[12:13]
	s_cbranch_execz .LBB42_22
; %bb.21:                               ;   in Loop: Header=BB42_16 Depth=1
	ds_write_b32 v2, v7
.LBB42_22:                              ;   in Loop: Header=BB42_16 Depth=1
	s_or_b64 exec, exec, s[14:15]
	ds_bpermute_b32 v7, v12, v7
	s_waitcnt lgkmcnt(0)
	; wave barrier
	s_waitcnt lgkmcnt(0)
	s_cmp_gt_u32 s18, 23
	v_cndmask_b32_e64 v7, v7, 0, s[16:17]
	v_add_u32_e32 v8, v7, v8
	v_add_u32_e32 v9, v8, v9
	;; [unrolled: 1-line block ×3, first 2 shown]
	ds_write2_b32 v11, v7, v8 offset0:1 offset1:2
	ds_write2_b32 v14, v9, v6 offset0:2 offset1:3
	s_waitcnt lgkmcnt(0)
	; wave barrier
	s_waitcnt lgkmcnt(0)
	ds_read_b32 v6, v21
	ds_read_b32 v7, v24
	s_waitcnt lgkmcnt(1)
	v_add_u32_e32 v8, v6, v22
	s_waitcnt lgkmcnt(0)
	v_add3_u32 v3, v3, v23, v7
	s_cbranch_scc0 .LBB42_15
; %bb.23:
                                        ; implicit-def: $vgpr7
                                        ; implicit-def: $sgpr18
                                        ; implicit-def: $vgpr21
.LBB42_24:
	v_lshlrev_b32_e32 v2, 2, v8
	s_waitcnt lgkmcnt(0)
	; wave barrier
	ds_write_b32 v2, v20
	v_lshlrev_b32_e32 v2, 2, v3
	ds_write_b32 v2, v18
	v_lshlrev_b32_e32 v2, 2, v10
	s_waitcnt lgkmcnt(0)
	; wave barrier
	s_waitcnt lgkmcnt(0)
	ds_read_b64 v[6:7], v2
	v_lshrrev_b16_e32 v2, 8, v13
	s_waitcnt lgkmcnt(0)
	; wave barrier
	s_waitcnt lgkmcnt(0)
	ds_write_b8 v8, v13
	ds_write_b8 v3, v2
	s_waitcnt lgkmcnt(0)
	; wave barrier
.LBB42_25:
	s_waitcnt lgkmcnt(0)
	v_bfrev_b32_e32 v2, -2
	v_cmp_gt_i32_e32 vcc, 0, v6
	ds_read_u16 v9, v10
	v_cndmask_b32_e64 v8, v2, 0, vcc
	v_cmp_gt_i32_e32 vcc, 0, v7
	v_cndmask_b32_e64 v2, v2, 0, vcc
	v_xor_b32_e32 v3, v2, v7
	v_xor_b32_e32 v2, v8, v6
	global_store_dwordx2 v[0:1], v[2:3], off
	s_waitcnt lgkmcnt(0)
	global_store_short v[4:5], v9, off
	s_endpgm
	.section	.rodata,"a",@progbits
	.p2align	6, 0x0
	.amdhsa_kernel _Z21sort_key_value_kernelILj64ELj2ELb0ELb1EfcEvPT3_PT4_jj
		.amdhsa_group_segment_fixed_size 1040
		.amdhsa_private_segment_fixed_size 0
		.amdhsa_kernarg_size 280
		.amdhsa_user_sgpr_count 6
		.amdhsa_user_sgpr_private_segment_buffer 1
		.amdhsa_user_sgpr_dispatch_ptr 0
		.amdhsa_user_sgpr_queue_ptr 0
		.amdhsa_user_sgpr_kernarg_segment_ptr 1
		.amdhsa_user_sgpr_dispatch_id 0
		.amdhsa_user_sgpr_flat_scratch_init 0
		.amdhsa_user_sgpr_kernarg_preload_length 0
		.amdhsa_user_sgpr_kernarg_preload_offset 0
		.amdhsa_user_sgpr_private_segment_size 0
		.amdhsa_uses_dynamic_stack 0
		.amdhsa_system_sgpr_private_segment_wavefront_offset 0
		.amdhsa_system_sgpr_workgroup_id_x 1
		.amdhsa_system_sgpr_workgroup_id_y 0
		.amdhsa_system_sgpr_workgroup_id_z 0
		.amdhsa_system_sgpr_workgroup_info 0
		.amdhsa_system_vgpr_workitem_id 2
		.amdhsa_next_free_vgpr 39
		.amdhsa_next_free_sgpr 32
		.amdhsa_accum_offset 40
		.amdhsa_reserve_vcc 1
		.amdhsa_reserve_flat_scratch 0
		.amdhsa_float_round_mode_32 0
		.amdhsa_float_round_mode_16_64 0
		.amdhsa_float_denorm_mode_32 3
		.amdhsa_float_denorm_mode_16_64 3
		.amdhsa_dx10_clamp 1
		.amdhsa_ieee_mode 1
		.amdhsa_fp16_overflow 0
		.amdhsa_tg_split 0
		.amdhsa_exception_fp_ieee_invalid_op 0
		.amdhsa_exception_fp_denorm_src 0
		.amdhsa_exception_fp_ieee_div_zero 0
		.amdhsa_exception_fp_ieee_overflow 0
		.amdhsa_exception_fp_ieee_underflow 0
		.amdhsa_exception_fp_ieee_inexact 0
		.amdhsa_exception_int_div_zero 0
	.end_amdhsa_kernel
	.section	.text._Z21sort_key_value_kernelILj64ELj2ELb0ELb1EfcEvPT3_PT4_jj,"axG",@progbits,_Z21sort_key_value_kernelILj64ELj2ELb0ELb1EfcEvPT3_PT4_jj,comdat
.Lfunc_end42:
	.size	_Z21sort_key_value_kernelILj64ELj2ELb0ELb1EfcEvPT3_PT4_jj, .Lfunc_end42-_Z21sort_key_value_kernelILj64ELj2ELb0ELb1EfcEvPT3_PT4_jj
                                        ; -- End function
	.section	.AMDGPU.csdata,"",@progbits
; Kernel info:
; codeLenInByte = 3632
; NumSgprs: 36
; NumVgprs: 39
; NumAgprs: 0
; TotalNumVgprs: 39
; ScratchSize: 0
; MemoryBound: 0
; FloatMode: 240
; IeeeMode: 1
; LDSByteSize: 1040 bytes/workgroup (compile time only)
; SGPRBlocks: 4
; VGPRBlocks: 4
; NumSGPRsForWavesPerEU: 36
; NumVGPRsForWavesPerEU: 39
; AccumOffset: 40
; Occupancy: 8
; WaveLimiterHint : 0
; COMPUTE_PGM_RSRC2:SCRATCH_EN: 0
; COMPUTE_PGM_RSRC2:USER_SGPR: 6
; COMPUTE_PGM_RSRC2:TRAP_HANDLER: 0
; COMPUTE_PGM_RSRC2:TGID_X_EN: 1
; COMPUTE_PGM_RSRC2:TGID_Y_EN: 0
; COMPUTE_PGM_RSRC2:TGID_Z_EN: 0
; COMPUTE_PGM_RSRC2:TIDIG_COMP_CNT: 2
; COMPUTE_PGM_RSRC3_GFX90A:ACCUM_OFFSET: 9
; COMPUTE_PGM_RSRC3_GFX90A:TG_SPLIT: 0
	.section	.text._Z21sort_key_value_kernelILj255ELj1ELb0ELb0EhfEvPT3_PT4_jj,"axG",@progbits,_Z21sort_key_value_kernelILj255ELj1ELb0ELb0EhfEvPT3_PT4_jj,comdat
	.protected	_Z21sort_key_value_kernelILj255ELj1ELb0ELb0EhfEvPT3_PT4_jj ; -- Begin function _Z21sort_key_value_kernelILj255ELj1ELb0ELb0EhfEvPT3_PT4_jj
	.globl	_Z21sort_key_value_kernelILj255ELj1ELb0ELb0EhfEvPT3_PT4_jj
	.p2align	8
	.type	_Z21sort_key_value_kernelILj255ELj1ELb0ELb0EhfEvPT3_PT4_jj,@function
_Z21sort_key_value_kernelILj255ELj1ELb0ELb0EhfEvPT3_PT4_jj: ; @_Z21sort_key_value_kernelILj255ELj1ELb0ELb0EhfEvPT3_PT4_jj
; %bb.0:
	s_load_dwordx4 s[0:3], s[4:5], 0x0
	s_load_dwordx2 s[30:31], s[4:5], 0x10
	s_mul_i32 s4, s6, 0xff
	s_mov_b32 s5, 0
	v_lshlrev_b32_e32 v20, 2, v0
	s_waitcnt lgkmcnt(0)
	s_add_u32 s26, s0, s4
	s_addc_u32 s27, s1, 0
	s_lshl_b64 s[0:1], s[4:5], 2
	s_add_u32 s28, s2, s0
	s_addc_u32 s29, s3, s1
	global_load_ubyte v18, v0, s[26:27]
	global_load_dword v17, v20, s[28:29]
	s_cmp_lg_u32 s30, 0
	s_cselect_b64 s[0:1], -1, 0
	s_cmp_lg_u32 s31, 8
	s_cselect_b64 s[2:3], -1, 0
	s_or_b64 s[0:1], s[0:1], s[2:3]
	v_mov_b32_e32 v11, s27
	v_mov_b32_e32 v13, s29
	v_lshlrev_b32_e32 v15, 5, v0
	s_and_b64 vcc, exec, s[0:1]
	v_mbcnt_lo_u32_b32 v21, -1, 0
	v_cmp_gt_u32_e64 s[0:1], 4, v0
	v_cmp_lt_u32_e64 s[2:3], 63, v0
	v_lshrrev_b32_e32 v19, 4, v0
	s_cbranch_vccz .LBB43_18
; %bb.1:
	v_mbcnt_hi_u32_b32 v1, -1, v21
	v_and_b32_e32 v2, 15, v1
	v_cmp_eq_u32_e64 s[4:5], 0, v2
	v_cmp_lt_u32_e64 s[6:7], 1, v2
	v_cmp_lt_u32_e64 s[8:9], 3, v2
	;; [unrolled: 1-line block ×3, first 2 shown]
	v_and_b32_e32 v2, 16, v1
	v_cmp_eq_u32_e64 s[12:13], 0, v2
	v_and_b32_e32 v2, 0xc0, v0
	v_min_u32_e32 v2, 0xbf, v2
	v_add_u32_e32 v2, 63, v2
	v_cmp_eq_u32_e64 s[16:17], v2, v0
	v_add_u32_e32 v2, -1, v1
	v_and_b32_e32 v3, 64, v1
	v_cmp_lt_i32_e32 vcc, v2, v3
	v_cmp_lt_u32_e64 s[14:15], 31, v1
	v_cndmask_b32_e32 v2, v2, v1, vcc
	v_cmp_eq_u32_e64 s[18:19], 0, v1
	v_and_b32_e32 v1, 3, v1
	v_cmp_eq_u32_e64 s[20:21], 0, v1
	v_cmp_lt_u32_e64 s[22:23], 1, v1
	v_sub_u32_e32 v1, 0x6f8, v0
	s_mov_b32 s24, 0x1010102
	v_mul_hi_u32 v1, v1, s24
	v_lshlrev_b32_e32 v12, 2, v2
	v_add_u32_e32 v2, 3, v1
	v_add_u32_e32 v10, 1, v1
	v_and_b32_e32 v14, 12, v19
	v_mad_u32_u24 v16, v0, 3, v0
	v_and_b32_e32 v22, 30, v2
	v_mov_b32_e32 v1, v10
	v_add_u32_e32 v24, 0x3fc, v20
	v_mov_b32_e32 v25, 0
	s_waitcnt vmcnt(0)
	v_mov_b32_e32 v5, v17
	v_mov_b32_e32 v4, v18
	s_branch .LBB43_3
.LBB43_2:                               ;   in Loop: Header=BB43_3 Depth=1
	v_add_u32_e32 v5, v2, v3
	s_barrier
	ds_write_b8 v2, v26
	s_waitcnt lgkmcnt(0)
	s_barrier
	ds_read_u8 v4, v0
	s_waitcnt lgkmcnt(0)
	s_barrier
	ds_write_b32 v5, v23
	s_waitcnt lgkmcnt(0)
	s_barrier
	ds_read_b32 v5, v16
	s_waitcnt lgkmcnt(0)
	s_barrier
	s_cbranch_execz .LBB43_17
.LBB43_3:                               ; =>This Loop Header: Depth=1
                                        ;     Child Loop BB43_5 Depth 2
	v_mov_b32_e32 v26, v4
	v_mov_b32_e32 v23, v5
	s_mov_b32 s27, 0
	s_mov_b64 s[34:35], 0
	v_mov_b32_e32 v2, v16
	v_mov_b32_e32 v3, v24
	s_branch .LBB43_5
.LBB43_4:                               ;   in Loop: Header=BB43_5 Depth=2
	s_or_b64 exec, exec, s[24:25]
	s_add_i32 s27, s27, 2
	v_cmp_eq_u32_e32 vcc, s27, v22
	v_add_u32_e32 v3, 0x7f8, v3
	s_or_b64 s[34:35], vcc, s[34:35]
	v_add_u32_e32 v2, 0x7f8, v2
	s_andn2_b64 exec, exec, s[34:35]
	s_cbranch_execz .LBB43_9
.LBB43_5:                               ;   Parent Loop BB43_3 Depth=1
                                        ; =>  This Inner Loop Header: Depth=2
	s_or_b32 s24, s27, 1
	v_cmp_le_u32_e32 vcc, s24, v1
	v_cmp_le_u32_e64 s[24:25], s27, v10
	s_and_saveexec_b64 s[36:37], s[24:25]
	s_cbranch_execz .LBB43_7
; %bb.6:                                ;   in Loop: Header=BB43_5 Depth=2
	ds_write_b32 v2, v25
.LBB43_7:                               ;   in Loop: Header=BB43_5 Depth=2
	s_or_b64 exec, exec, s[36:37]
	s_and_saveexec_b64 s[24:25], vcc
	s_cbranch_execz .LBB43_4
; %bb.8:                                ;   in Loop: Header=BB43_5 Depth=2
	ds_write_b32 v3, v25
	s_branch .LBB43_4
.LBB43_9:                               ;   in Loop: Header=BB43_3 Depth=1
	s_or_b64 exec, exec, s[34:35]
	s_sub_i32 s24, s31, s30
	s_min_u32 s24, s24, 4
	v_lshrrev_b32_sdwa v2, s30, v26 dst_sel:DWORD dst_unused:UNUSED_PAD src0_sel:DWORD src1_sel:BYTE_0
	v_bfe_u32 v2, v2, 0, s24
	v_and_b32_e32 v3, 7, v2
	v_mul_u32_u24_e32 v3, 0xff, v3
	v_lshrrev_b32_e32 v2, 3, v2
	v_add_lshl_u32 v3, v3, v0, 1
	v_add_lshl_u32 v28, v3, v2, 1
	ds_read_u16 v27, v28
	s_waitcnt lgkmcnt(0)
	v_add_u16_e32 v2, 1, v27
	ds_write_b16 v28, v2
	s_waitcnt lgkmcnt(0)
	s_barrier
	ds_read2_b64 v[6:9], v15 offset1:1
	ds_read2_b64 v[2:5], v15 offset0:2 offset1:3
	s_waitcnt lgkmcnt(1)
	v_add_u32_e32 v29, v7, v6
	v_add3_u32 v29, v29, v8, v9
	s_waitcnt lgkmcnt(0)
	v_add3_u32 v29, v29, v2, v3
	v_add3_u32 v5, v29, v4, v5
	s_nop 1
	v_mov_b32_dpp v29, v5 row_shr:1 row_mask:0xf bank_mask:0xf
	v_cndmask_b32_e64 v29, v29, 0, s[4:5]
	v_add_u32_e32 v5, v29, v5
	s_nop 1
	v_mov_b32_dpp v29, v5 row_shr:2 row_mask:0xf bank_mask:0xf
	v_cndmask_b32_e64 v29, 0, v29, s[6:7]
	v_add_u32_e32 v5, v5, v29
	;; [unrolled: 4-line block ×4, first 2 shown]
	s_nop 1
	v_mov_b32_dpp v29, v5 row_bcast:15 row_mask:0xf bank_mask:0xf
	v_cndmask_b32_e64 v29, v29, 0, s[12:13]
	v_add_u32_e32 v5, v5, v29
	s_nop 1
	v_mov_b32_dpp v29, v5 row_bcast:31 row_mask:0xf bank_mask:0xf
	v_cndmask_b32_e64 v29, 0, v29, s[14:15]
	v_add_u32_e32 v5, v5, v29
	s_and_saveexec_b64 s[24:25], s[16:17]
	s_cbranch_execz .LBB43_11
; %bb.10:                               ;   in Loop: Header=BB43_3 Depth=1
	ds_write_b32 v14, v5 offset:8160
.LBB43_11:                              ;   in Loop: Header=BB43_3 Depth=1
	s_or_b64 exec, exec, s[24:25]
	s_waitcnt lgkmcnt(0)
	s_barrier
	s_and_saveexec_b64 s[24:25], s[0:1]
	s_cbranch_execz .LBB43_13
; %bb.12:                               ;   in Loop: Header=BB43_3 Depth=1
	ds_read_b32 v29, v20 offset:8160
	s_waitcnt lgkmcnt(0)
	s_nop 0
	v_mov_b32_dpp v30, v29 row_shr:1 row_mask:0xf bank_mask:0xf
	v_cndmask_b32_e64 v30, v30, 0, s[20:21]
	v_add_u32_e32 v29, v30, v29
	s_nop 1
	v_mov_b32_dpp v30, v29 row_shr:2 row_mask:0xf bank_mask:0xf
	v_cndmask_b32_e64 v30, 0, v30, s[22:23]
	v_add_u32_e32 v29, v29, v30
	ds_write_b32 v20, v29 offset:8160
.LBB43_13:                              ;   in Loop: Header=BB43_3 Depth=1
	s_or_b64 exec, exec, s[24:25]
	v_mov_b32_e32 v29, 0
	s_waitcnt lgkmcnt(0)
	s_barrier
	s_and_saveexec_b64 s[24:25], s[2:3]
	s_cbranch_execz .LBB43_15
; %bb.14:                               ;   in Loop: Header=BB43_3 Depth=1
	ds_read_b32 v29, v14 offset:8156
.LBB43_15:                              ;   in Loop: Header=BB43_3 Depth=1
	s_or_b64 exec, exec, s[24:25]
	s_waitcnt lgkmcnt(0)
	v_add_u32_e32 v5, v29, v5
	ds_bpermute_b32 v5, v12, v5
	ds_read_b32 v30, v25 offset:8172
	s_add_i32 s30, s30, 4
	s_cmp_ge_u32 s30, s31
	s_waitcnt lgkmcnt(1)
	v_cndmask_b32_e64 v5, v5, v29, s[18:19]
	s_waitcnt lgkmcnt(0)
	v_lshl_add_u32 v30, v30, 16, v5
	v_add_u32_e32 v31, v30, v6
	v_add_u32_e32 v6, v31, v7
	v_add_u32_e32 v7, v6, v8
	v_add_u32_e32 v8, v7, v9
	v_add_u32_e32 v9, v8, v2
	v_add_u32_e32 v2, v9, v3
	v_add_u32_e32 v3, v2, v4
	ds_write2_b64 v15, v[30:31], v[6:7] offset1:1
	ds_write2_b64 v15, v[8:9], v[2:3] offset0:2 offset1:3
	s_waitcnt lgkmcnt(0)
	s_barrier
	ds_read_u16 v2, v28
	s_waitcnt lgkmcnt(0)
	v_add_u32_sdwa v2, v2, v27 dst_sel:DWORD dst_unused:UNUSED_PAD src0_sel:DWORD src1_sel:WORD_0
	v_mul_u32_u24_e32 v3, 3, v2
	s_cbranch_scc0 .LBB43_2
; %bb.16:
                                        ; implicit-def: $vgpr4
                                        ; implicit-def: $vgpr5
.LBB43_17:
	s_barrier
	ds_write_b8 v2, v26
	s_waitcnt lgkmcnt(0)
	s_barrier
	ds_read_u8 v1, v0
	v_add_u32_e32 v2, v2, v3
	s_waitcnt lgkmcnt(0)
	s_barrier
	ds_write_b32 v2, v23
	s_waitcnt lgkmcnt(0)
	s_barrier
	s_mov_b64 s[0:1], 0
	s_branch .LBB43_19
.LBB43_18:
	s_mov_b64 s[0:1], -1
                                        ; implicit-def: $vgpr16
                                        ; implicit-def: $vgpr1
.LBB43_19:
	v_add_co_u32_e32 v10, vcc, s26, v0
	v_addc_co_u32_e32 v11, vcc, 0, v11, vcc
	v_add_co_u32_e32 v12, vcc, s28, v20
	v_addc_co_u32_e32 v13, vcc, 0, v13, vcc
	s_and_b64 vcc, exec, s[0:1]
	s_cbranch_vccz .LBB43_45
; %bb.20:
	v_sub_u32_e32 v1, 0x6f8, v0
	s_mov_b32 s0, 0x1010102
	v_mul_hi_u32 v1, v1, s0
	v_add_u32_e32 v2, 3, v1
	v_add_u32_e32 v14, 1, v1
	v_and_b32_e32 v22, 30, v2
	v_mov_b32_e32 v1, v14
	s_mov_b32 s6, 0
	s_mov_b64 s[2:3], 0
	v_mov_b32_e32 v2, 0
	s_branch .LBB43_22
.LBB43_21:                              ;   in Loop: Header=BB43_22 Depth=1
	s_or_b64 exec, exec, s[0:1]
	s_add_i32 s6, s6, 2
	v_cmp_eq_u32_e32 vcc, s6, v22
	s_or_b64 s[2:3], vcc, s[2:3]
	v_add_u32_e32 v20, 0x7f8, v20
	s_andn2_b64 exec, exec, s[2:3]
	s_cbranch_execz .LBB43_26
.LBB43_22:                              ; =>This Inner Loop Header: Depth=1
	s_or_b32 s0, s6, 1
	v_cmp_le_u32_e32 vcc, s0, v1
	v_cmp_le_u32_e64 s[0:1], s6, v14
	s_and_saveexec_b64 s[4:5], s[0:1]
	s_cbranch_execz .LBB43_24
; %bb.23:                               ;   in Loop: Header=BB43_22 Depth=1
	ds_write_b32 v20, v2
.LBB43_24:                              ;   in Loop: Header=BB43_22 Depth=1
	s_or_b64 exec, exec, s[4:5]
	s_and_saveexec_b64 s[0:1], vcc
	s_cbranch_execz .LBB43_21
; %bb.25:                               ;   in Loop: Header=BB43_22 Depth=1
	ds_write_b32 v20, v2 offset:1020
	s_branch .LBB43_21
.LBB43_26:
	s_or_b64 exec, exec, s[2:3]
	s_waitcnt vmcnt(1)
	v_lshrrev_b16_e32 v3, 2, v18
	v_and_b32_e32 v4, 7, v18
	s_movk_i32 s0, 0xff
	v_mad_u32_u24 v4, v4, s0, v0
	v_and_b32_e32 v3, 2, v3
	v_lshl_or_b32 v23, v4, 2, v3
	v_mbcnt_hi_u32_b32 v24, -1, v21
	ds_read_u16 v21, v23
	v_and_b32_e32 v2, 16, v24
	v_and_b32_e32 v3, 0xc0, v0
	v_cmp_eq_u32_e32 vcc, 0, v2
	v_min_u32_e32 v3, 0xbf, v3
	s_waitcnt lgkmcnt(0)
	v_add_u16_e32 v2, 1, v21
	ds_write_b16 v23, v2
	s_waitcnt lgkmcnt(0)
	s_barrier
	ds_read2_b64 v[6:9], v15 offset1:1
	v_add_u32_e32 v3, 63, v3
	v_cmp_eq_u32_e64 s[0:1], v3, v0
	ds_read2_b64 v[2:5], v15 offset0:2 offset1:3
	v_and_b32_e32 v20, 15, v24
	s_waitcnt lgkmcnt(1)
	v_add_u32_e32 v26, v7, v6
	v_add3_u32 v26, v26, v8, v9
	v_cmp_eq_u32_e64 s[6:7], 0, v20
	s_waitcnt lgkmcnt(0)
	v_add3_u32 v26, v26, v2, v3
	v_add3_u32 v5, v26, v4, v5
	v_cmp_lt_u32_e64 s[8:9], 1, v20
	v_cmp_lt_u32_e64 s[10:11], 3, v20
	v_mov_b32_dpp v26, v5 row_shr:1 row_mask:0xf bank_mask:0xf
	v_cndmask_b32_e64 v26, v26, 0, s[6:7]
	v_add_u32_e32 v5, v26, v5
	v_cmp_lt_u32_e64 s[14:15], 7, v20
	v_bfe_i32 v25, v24, 4, 1
	v_mov_b32_dpp v26, v5 row_shr:2 row_mask:0xf bank_mask:0xf
	v_cndmask_b32_e64 v26, 0, v26, s[8:9]
	v_add_u32_e32 v5, v5, v26
	v_cmp_lt_u32_e64 s[16:17], 31, v24
	v_and_b32_e32 v19, 12, v19
	v_mov_b32_dpp v26, v5 row_shr:4 row_mask:0xf bank_mask:0xf
	v_cndmask_b32_e64 v26, 0, v26, s[10:11]
	v_add_u32_e32 v5, v5, v26
	v_mul_u32_u24_e32 v16, 3, v0
	s_nop 0
	v_mov_b32_dpp v26, v5 row_shr:8 row_mask:0xf bank_mask:0xf
	v_cndmask_b32_e64 v20, 0, v26, s[14:15]
	v_add_u32_e32 v5, v5, v20
	s_nop 1
	v_mov_b32_dpp v20, v5 row_bcast:15 row_mask:0xf bank_mask:0xf
	v_and_b32_e32 v20, v25, v20
	v_add_u32_e32 v5, v5, v20
	s_nop 1
	v_mov_b32_dpp v20, v5 row_bcast:31 row_mask:0xf bank_mask:0xf
	v_cndmask_b32_e64 v20, 0, v20, s[16:17]
	v_add_u32_e32 v25, v5, v20
	s_and_saveexec_b64 s[2:3], s[0:1]
	s_cbranch_execz .LBB43_28
; %bb.27:
	ds_write_b32 v19, v25 offset:8160
.LBB43_28:
	s_or_b64 exec, exec, s[2:3]
	v_and_b32_e32 v5, 3, v24
	v_cmp_gt_u32_e64 s[12:13], 4, v0
	v_cmp_eq_u32_e64 s[4:5], 0, v5
	v_add_u32_e32 v16, v0, v16
	v_cmp_lt_u32_e64 s[2:3], 1, v5
	s_waitcnt lgkmcnt(0)
	s_barrier
	s_and_saveexec_b64 s[18:19], s[12:13]
	s_cbranch_execz .LBB43_30
; %bb.29:
	ds_read_b32 v5, v16 offset:8160
	s_waitcnt lgkmcnt(0)
	s_nop 0
	v_mov_b32_dpp v20, v5 row_shr:1 row_mask:0xf bank_mask:0xf
	v_cndmask_b32_e64 v20, v20, 0, s[4:5]
	v_add_u32_e32 v5, v20, v5
	s_nop 1
	v_mov_b32_dpp v20, v5 row_shr:2 row_mask:0xf bank_mask:0xf
	v_cndmask_b32_e64 v20, 0, v20, s[2:3]
	v_add_u32_e32 v5, v5, v20
	ds_write_b32 v16, v5 offset:8160
.LBB43_30:
	s_or_b64 exec, exec, s[18:19]
	v_cmp_lt_u32_e64 s[18:19], 63, v0
	v_mov_b32_e32 v5, 0
	v_mov_b32_e32 v26, 0
	s_waitcnt lgkmcnt(0)
	s_barrier
	s_and_saveexec_b64 s[20:21], s[18:19]
	s_cbranch_execz .LBB43_32
; %bb.31:
	ds_read_b32 v26, v19 offset:8156
.LBB43_32:
	s_or_b64 exec, exec, s[20:21]
	v_add_u32_e32 v20, -1, v24
	v_and_b32_e32 v27, 64, v24
	v_cmp_lt_i32_e64 s[20:21], v20, v27
	v_cndmask_b32_e64 v20, v20, v24, s[20:21]
	v_lshlrev_b32_e32 v20, 2, v20
	s_waitcnt lgkmcnt(0)
	v_add_u32_e32 v25, v26, v25
	ds_bpermute_b32 v25, v20, v25
	ds_read_b32 v27, v5 offset:8172
	v_cmp_eq_u32_e64 s[20:21], 0, v24
	s_mov_b32 s30, 0
	s_mov_b64 s[26:27], 0
	s_waitcnt lgkmcnt(1)
	v_cndmask_b32_e64 v24, v25, v26, s[20:21]
	s_waitcnt lgkmcnt(0)
	v_lshl_add_u32 v24, v27, 16, v24
	v_add_u32_e32 v25, v24, v6
	v_add_u32_e32 v6, v25, v7
	;; [unrolled: 1-line block ×7, first 2 shown]
	ds_write2_b64 v15, v[24:25], v[6:7] offset1:1
	ds_write2_b64 v15, v[8:9], v[2:3] offset0:2 offset1:3
	s_waitcnt lgkmcnt(0)
	s_barrier
	ds_read_u16 v2, v23
	s_waitcnt lgkmcnt(0)
	s_barrier
	v_add_u32_sdwa v2, v2, v21 dst_sel:DWORD dst_unused:UNUSED_PAD src0_sel:DWORD src1_sel:WORD_0
	ds_write_b8 v2, v18
	v_mad_u32_u24 v2, v2, 3, v2
	s_waitcnt lgkmcnt(0)
	s_barrier
	ds_read_u8 v18, v0
	s_waitcnt lgkmcnt(0)
	s_barrier
	s_waitcnt vmcnt(0)
	ds_write_b32 v2, v17
	s_waitcnt lgkmcnt(0)
	s_barrier
	ds_read_b32 v17, v16
	v_mov_b32_e32 v2, v16
	s_waitcnt lgkmcnt(0)
	s_barrier
	s_branch .LBB43_34
.LBB43_33:                              ;   in Loop: Header=BB43_34 Depth=1
	s_or_b64 exec, exec, s[24:25]
	s_add_i32 s30, s30, 2
	v_cmp_eq_u32_e64 s[22:23], s30, v22
	s_or_b64 s[26:27], s[22:23], s[26:27]
	v_add_u32_e32 v2, 0x7f8, v2
	s_andn2_b64 exec, exec, s[26:27]
	s_cbranch_execz .LBB43_38
.LBB43_34:                              ; =>This Inner Loop Header: Depth=1
	s_or_b32 s22, s30, 1
	v_cmp_le_u32_e64 s[22:23], s22, v1
	v_cmp_le_u32_e64 s[24:25], s30, v14
	s_and_saveexec_b64 s[28:29], s[24:25]
	s_cbranch_execz .LBB43_36
; %bb.35:                               ;   in Loop: Header=BB43_34 Depth=1
	ds_write_b32 v2, v5
.LBB43_36:                              ;   in Loop: Header=BB43_34 Depth=1
	s_or_b64 exec, exec, s[28:29]
	s_and_saveexec_b64 s[24:25], s[22:23]
	s_cbranch_execz .LBB43_33
; %bb.37:                               ;   in Loop: Header=BB43_34 Depth=1
	ds_write_b32 v2, v5 offset:1020
	s_branch .LBB43_33
.LBB43_38:
	s_or_b64 exec, exec, s[26:27]
	v_lshrrev_b16_e32 v1, 4, v18
	v_and_b32_e32 v1, 15, v1
	v_mov_b32_e32 v2, 7
	v_mov_b32_e32 v3, 2
	v_and_b32_sdwa v2, v1, v2 dst_sel:DWORD dst_unused:UNUSED_PAD src0_sel:WORD_0 src1_sel:DWORD
	s_movk_i32 s22, 0xff
	v_lshrrev_b32_sdwa v1, v3, v1 dst_sel:DWORD dst_unused:UNUSED_PAD src0_sel:DWORD src1_sel:WORD_0
	v_mad_u32_u24 v2, v2, s22, v0
	v_and_b32_e32 v1, 2, v1
	v_lshl_or_b32 v14, v2, 2, v1
	ds_read_u16 v1, v14
	s_waitcnt lgkmcnt(0)
	v_add_u16_e32 v2, 1, v1
	ds_write_b16 v14, v2
	s_waitcnt lgkmcnt(0)
	s_barrier
	ds_read2_b64 v[6:9], v15 offset1:1
	ds_read2_b64 v[2:5], v15 offset0:2 offset1:3
	s_waitcnt lgkmcnt(1)
	v_add_u32_e32 v21, v7, v6
	v_add3_u32 v21, v21, v8, v9
	s_waitcnt lgkmcnt(0)
	v_add3_u32 v21, v21, v2, v3
	v_add3_u32 v5, v21, v4, v5
	s_nop 1
	v_mov_b32_dpp v21, v5 row_shr:1 row_mask:0xf bank_mask:0xf
	v_cndmask_b32_e64 v21, v21, 0, s[6:7]
	v_add_u32_e32 v5, v21, v5
	s_nop 1
	v_mov_b32_dpp v21, v5 row_shr:2 row_mask:0xf bank_mask:0xf
	v_cndmask_b32_e64 v21, 0, v21, s[8:9]
	v_add_u32_e32 v5, v5, v21
	;; [unrolled: 4-line block ×4, first 2 shown]
	s_nop 1
	v_mov_b32_dpp v21, v5 row_bcast:15 row_mask:0xf bank_mask:0xf
	v_cndmask_b32_e64 v21, v21, 0, vcc
	v_add_u32_e32 v5, v5, v21
	s_nop 1
	v_mov_b32_dpp v21, v5 row_bcast:31 row_mask:0xf bank_mask:0xf
	v_cndmask_b32_e64 v21, 0, v21, s[16:17]
	v_add_u32_e32 v5, v5, v21
	s_and_saveexec_b64 s[6:7], s[0:1]
	s_cbranch_execz .LBB43_40
; %bb.39:
	ds_write_b32 v19, v5 offset:8160
.LBB43_40:
	s_or_b64 exec, exec, s[6:7]
	s_waitcnt lgkmcnt(0)
	s_barrier
	s_and_saveexec_b64 s[0:1], s[12:13]
	s_cbranch_execz .LBB43_42
; %bb.41:
	ds_read_b32 v21, v16 offset:8160
	s_waitcnt lgkmcnt(0)
	s_nop 0
	v_mov_b32_dpp v22, v21 row_shr:1 row_mask:0xf bank_mask:0xf
	v_cndmask_b32_e64 v22, v22, 0, s[4:5]
	v_add_u32_e32 v21, v22, v21
	s_nop 1
	v_mov_b32_dpp v22, v21 row_shr:2 row_mask:0xf bank_mask:0xf
	v_cndmask_b32_e64 v22, 0, v22, s[2:3]
	v_add_u32_e32 v21, v21, v22
	ds_write_b32 v16, v21 offset:8160
.LBB43_42:
	s_or_b64 exec, exec, s[0:1]
	v_mov_b32_e32 v21, 0
	v_mov_b32_e32 v22, 0
	s_waitcnt lgkmcnt(0)
	s_barrier
	s_and_saveexec_b64 s[0:1], s[18:19]
	s_cbranch_execz .LBB43_44
; %bb.43:
	ds_read_b32 v22, v19 offset:8156
.LBB43_44:
	s_or_b64 exec, exec, s[0:1]
	s_waitcnt lgkmcnt(0)
	v_add_u32_e32 v5, v22, v5
	ds_bpermute_b32 v5, v20, v5
	ds_read_b32 v19, v21 offset:8172
	s_waitcnt lgkmcnt(1)
	v_cndmask_b32_e64 v5, v5, v22, s[20:21]
	s_waitcnt lgkmcnt(0)
	v_lshl_add_u32 v20, v19, 16, v5
	v_add_u32_e32 v21, v20, v6
	v_add_u32_e32 v6, v21, v7
	;; [unrolled: 1-line block ×7, first 2 shown]
	ds_write2_b64 v15, v[20:21], v[6:7] offset1:1
	ds_write2_b64 v15, v[8:9], v[2:3] offset0:2 offset1:3
	s_waitcnt lgkmcnt(0)
	s_barrier
	ds_read_u16 v2, v14
	s_waitcnt lgkmcnt(0)
	s_barrier
	v_add_u32_sdwa v2, v2, v1 dst_sel:DWORD dst_unused:UNUSED_PAD src0_sel:DWORD src1_sel:WORD_0
	ds_write_b8 v2, v18
	s_waitcnt lgkmcnt(0)
	s_barrier
	ds_read_u8 v1, v0
	v_mad_u32_u24 v0, v2, 3, v2
	s_waitcnt lgkmcnt(0)
	s_barrier
	ds_write_b32 v0, v17
	s_waitcnt lgkmcnt(0)
	s_barrier
.LBB43_45:
	ds_read_b32 v0, v16
	global_store_byte v[10:11], v1, off
	s_waitcnt lgkmcnt(0)
	global_store_dword v[12:13], v0, off
	s_endpgm
	.section	.rodata,"a",@progbits
	.p2align	6, 0x0
	.amdhsa_kernel _Z21sort_key_value_kernelILj255ELj1ELb0ELb0EhfEvPT3_PT4_jj
		.amdhsa_group_segment_fixed_size 8176
		.amdhsa_private_segment_fixed_size 0
		.amdhsa_kernarg_size 24
		.amdhsa_user_sgpr_count 6
		.amdhsa_user_sgpr_private_segment_buffer 1
		.amdhsa_user_sgpr_dispatch_ptr 0
		.amdhsa_user_sgpr_queue_ptr 0
		.amdhsa_user_sgpr_kernarg_segment_ptr 1
		.amdhsa_user_sgpr_dispatch_id 0
		.amdhsa_user_sgpr_flat_scratch_init 0
		.amdhsa_user_sgpr_kernarg_preload_length 0
		.amdhsa_user_sgpr_kernarg_preload_offset 0
		.amdhsa_user_sgpr_private_segment_size 0
		.amdhsa_uses_dynamic_stack 0
		.amdhsa_system_sgpr_private_segment_wavefront_offset 0
		.amdhsa_system_sgpr_workgroup_id_x 1
		.amdhsa_system_sgpr_workgroup_id_y 0
		.amdhsa_system_sgpr_workgroup_id_z 0
		.amdhsa_system_sgpr_workgroup_info 0
		.amdhsa_system_vgpr_workitem_id 0
		.amdhsa_next_free_vgpr 32
		.amdhsa_next_free_sgpr 38
		.amdhsa_accum_offset 32
		.amdhsa_reserve_vcc 1
		.amdhsa_reserve_flat_scratch 0
		.amdhsa_float_round_mode_32 0
		.amdhsa_float_round_mode_16_64 0
		.amdhsa_float_denorm_mode_32 3
		.amdhsa_float_denorm_mode_16_64 3
		.amdhsa_dx10_clamp 1
		.amdhsa_ieee_mode 1
		.amdhsa_fp16_overflow 0
		.amdhsa_tg_split 0
		.amdhsa_exception_fp_ieee_invalid_op 0
		.amdhsa_exception_fp_denorm_src 0
		.amdhsa_exception_fp_ieee_div_zero 0
		.amdhsa_exception_fp_ieee_overflow 0
		.amdhsa_exception_fp_ieee_underflow 0
		.amdhsa_exception_fp_ieee_inexact 0
		.amdhsa_exception_int_div_zero 0
	.end_amdhsa_kernel
	.section	.text._Z21sort_key_value_kernelILj255ELj1ELb0ELb0EhfEvPT3_PT4_jj,"axG",@progbits,_Z21sort_key_value_kernelILj255ELj1ELb0ELb0EhfEvPT3_PT4_jj,comdat
.Lfunc_end43:
	.size	_Z21sort_key_value_kernelILj255ELj1ELb0ELb0EhfEvPT3_PT4_jj, .Lfunc_end43-_Z21sort_key_value_kernelILj255ELj1ELb0ELb0EhfEvPT3_PT4_jj
                                        ; -- End function
	.section	.AMDGPU.csdata,"",@progbits
; Kernel info:
; codeLenInByte = 2892
; NumSgprs: 42
; NumVgprs: 32
; NumAgprs: 0
; TotalNumVgprs: 32
; ScratchSize: 0
; MemoryBound: 0
; FloatMode: 240
; IeeeMode: 1
; LDSByteSize: 8176 bytes/workgroup (compile time only)
; SGPRBlocks: 5
; VGPRBlocks: 3
; NumSGPRsForWavesPerEU: 42
; NumVGPRsForWavesPerEU: 32
; AccumOffset: 32
; Occupancy: 8
; WaveLimiterHint : 0
; COMPUTE_PGM_RSRC2:SCRATCH_EN: 0
; COMPUTE_PGM_RSRC2:USER_SGPR: 6
; COMPUTE_PGM_RSRC2:TRAP_HANDLER: 0
; COMPUTE_PGM_RSRC2:TGID_X_EN: 1
; COMPUTE_PGM_RSRC2:TGID_Y_EN: 0
; COMPUTE_PGM_RSRC2:TGID_Z_EN: 0
; COMPUTE_PGM_RSRC2:TIDIG_COMP_CNT: 0
; COMPUTE_PGM_RSRC3_GFX90A:ACCUM_OFFSET: 7
; COMPUTE_PGM_RSRC3_GFX90A:TG_SPLIT: 0
	.section	.text._Z21sort_key_value_kernelILj162ELj1ELb1ELb0EjxEvPT3_PT4_jj,"axG",@progbits,_Z21sort_key_value_kernelILj162ELj1ELb1ELb0EjxEvPT3_PT4_jj,comdat
	.protected	_Z21sort_key_value_kernelILj162ELj1ELb1ELb0EjxEvPT3_PT4_jj ; -- Begin function _Z21sort_key_value_kernelILj162ELj1ELb1ELb0EjxEvPT3_PT4_jj
	.globl	_Z21sort_key_value_kernelILj162ELj1ELb1ELb0EjxEvPT3_PT4_jj
	.p2align	8
	.type	_Z21sort_key_value_kernelILj162ELj1ELb1ELb0EjxEvPT3_PT4_jj,@function
_Z21sort_key_value_kernelILj162ELj1ELb1ELb0EjxEvPT3_PT4_jj: ; @_Z21sort_key_value_kernelILj162ELj1ELb1ELb0EjxEvPT3_PT4_jj
; %bb.0:
	s_load_dwordx4 s[0:3], s[4:5], 0x0
	s_load_dwordx2 s[30:31], s[4:5], 0x10
	s_mul_i32 s4, s6, 0xa2
	s_mov_b32 s5, 0
	s_lshl_b64 s[6:7], s[4:5], 2
	s_waitcnt lgkmcnt(0)
	s_add_u32 s26, s0, s6
	s_addc_u32 s27, s1, s7
	s_lshl_b64 s[0:1], s[4:5], 3
	s_add_u32 s28, s2, s0
	v_lshlrev_b32_e32 v11, 2, v0
	s_addc_u32 s29, s3, s1
	v_lshlrev_b32_e32 v14, 3, v0
	global_load_dword v23, v11, s[26:27]
	global_load_dwordx2 v[16:17], v14, s[28:29]
	v_mbcnt_lo_u32_b32 v1, -1, 0
	v_mbcnt_hi_u32_b32 v1, -1, v1
	v_and_b32_e32 v2, 15, v1
	v_cmp_eq_u32_e64 s[22:23], 0, v2
	v_cmp_lt_u32_e64 s[20:21], 1, v2
	v_cmp_lt_u32_e64 s[18:19], 3, v2
	;; [unrolled: 1-line block ×3, first 2 shown]
	v_and_b32_e32 v2, 16, v1
	v_cmp_eq_u32_e64 s[14:15], 0, v2
	v_and_b32_e32 v2, 0xc0, v0
	v_min_u32_e32 v2, 0x62, v2
	s_cmp_eq_u32 s30, 0
	v_add_u32_e32 v2, 63, v2
	s_cselect_b64 s[0:1], -1, 0
	s_cmp_eq_u32 s31, 32
	v_cmp_eq_u32_e64 s[12:13], v2, v0
	v_add_u32_e32 v2, -1, v1
	v_and_b32_e32 v3, 64, v1
	s_cselect_b64 s[2:3], -1, 0
	v_cmp_lt_i32_e32 vcc, v2, v3
	s_and_b64 s[24:25], s[0:1], s[2:3]
	v_lshlrev_b32_e32 v19, 5, v0
	v_cmp_lt_u32_e64 s[10:11], 31, v1
	v_cndmask_b32_e32 v2, v2, v1, vcc
	v_cmp_eq_u32_e64 s[0:1], 0, v1
	s_movk_i32 s6, 0xffe4
	v_and_b32_e32 v1, 3, v1
	v_mov_b32_e32 v22, s27
	v_mad_i32_i24 v18, v0, s6, v19
	v_cmp_eq_u32_e64 s[8:9], 0, v1
	v_cmp_lt_u32_e64 s[6:7], 1, v1
	v_sub_u32_e32 v1, 0x46d, v0
	s_mov_b32 s27, 0x1948b10
	v_lshlrev_b32_e32 v20, 2, v2
	v_lshrrev_b32_e32 v2, 4, v0
	v_mul_hi_u32 v1, v1, s27
	v_mov_b32_e32 v15, s29
	v_cmp_gt_u32_e64 s[4:5], 3, v0
	v_cmp_lt_u32_e64 s[2:3], 63, v0
	v_and_b32_e32 v21, 12, v2
	s_and_b64 vcc, exec, s[24:25]
	v_add_u32_e32 v24, 3, v1
	v_add_u32_e32 v10, 1, v1
	s_cbranch_vccnz .LBB44_18
; %bb.1:
	v_and_b32_e32 v25, 30, v24
	v_mov_b32_e32 v1, v10
	v_mov_b32_e32 v26, 0
	s_waitcnt vmcnt(0)
	v_pk_mov_b32 v[2:3], v[16:17], v[16:17] op_sel:[0,1]
	v_mov_b32_e32 v5, v23
	s_branch .LBB44_3
.LBB44_2:                               ;   in Loop: Header=BB44_3 Depth=1
	v_add_u32_e32 v2, v4, v4
	s_barrier
	ds_write_b32 v4, v27
	s_waitcnt lgkmcnt(0)
	s_barrier
	ds_read_b32 v5, v18
	s_waitcnt lgkmcnt(0)
	s_barrier
	ds_write_b64 v2, v[12:13]
	v_add_u32_e32 v2, v18, v11
	s_waitcnt lgkmcnt(0)
	s_barrier
	ds_read_b64 v[2:3], v2
	s_waitcnt lgkmcnt(0)
	s_barrier
	s_cbranch_execz .LBB44_17
.LBB44_3:                               ; =>This Loop Header: Depth=1
                                        ;     Child Loop BB44_5 Depth 2
	v_mov_b32_e32 v27, v5
	v_pk_mov_b32 v[12:13], v[2:3], v[2:3] op_sel:[0,1]
	s_mov_b64 s[34:35], 0
	v_mov_b32_e32 v2, v18
	s_mov_b32 s27, 0
	s_branch .LBB44_5
.LBB44_4:                               ;   in Loop: Header=BB44_5 Depth=2
	s_or_b64 exec, exec, s[24:25]
	s_add_i32 s27, s27, 2
	v_cmp_eq_u32_e32 vcc, s27, v25
	s_or_b64 s[34:35], vcc, s[34:35]
	v_add_u32_e32 v2, 0x510, v2
	s_andn2_b64 exec, exec, s[34:35]
	s_cbranch_execz .LBB44_9
.LBB44_5:                               ;   Parent Loop BB44_3 Depth=1
                                        ; =>  This Inner Loop Header: Depth=2
	s_or_b32 s24, s27, 1
	v_cmp_le_u32_e32 vcc, s24, v1
	v_cmp_le_u32_e64 s[24:25], s27, v10
	s_and_saveexec_b64 s[36:37], s[24:25]
	s_cbranch_execz .LBB44_7
; %bb.6:                                ;   in Loop: Header=BB44_5 Depth=2
	ds_write_b32 v2, v26
.LBB44_7:                               ;   in Loop: Header=BB44_5 Depth=2
	s_or_b64 exec, exec, s[36:37]
	s_and_saveexec_b64 s[24:25], vcc
	s_cbranch_execz .LBB44_4
; %bb.8:                                ;   in Loop: Header=BB44_5 Depth=2
	ds_write_b32 v2, v26 offset:648
	s_branch .LBB44_4
.LBB44_9:                               ;   in Loop: Header=BB44_3 Depth=1
	s_or_b64 exec, exec, s[34:35]
	s_sub_i32 s24, s31, s30
	s_min_u32 s24, s24, 4
	v_lshrrev_b32_e32 v2, s30, v27
	v_bfe_u32 v2, v2, 0, s24
	v_and_b32_e32 v3, 7, v2
	v_mul_u32_u24_e32 v3, 0xa2, v3
	v_lshrrev_b32_e32 v2, 3, v2
	v_add_lshl_u32 v3, v3, v0, 1
	v_add_lshl_u32 v28, v3, v2, 1
	ds_read_u16 v29, v28
	s_waitcnt lgkmcnt(0)
	v_add_u16_e32 v2, 1, v29
	ds_write_b16 v28, v2
	s_waitcnt lgkmcnt(0)
	s_barrier
	ds_read2_b64 v[6:9], v19 offset1:1
	ds_read2_b64 v[2:5], v19 offset0:2 offset1:3
	s_waitcnt lgkmcnt(1)
	v_add_u32_e32 v30, v7, v6
	v_add3_u32 v30, v30, v8, v9
	s_waitcnt lgkmcnt(0)
	v_add3_u32 v30, v30, v2, v3
	v_add3_u32 v5, v30, v4, v5
	s_nop 1
	v_mov_b32_dpp v30, v5 row_shr:1 row_mask:0xf bank_mask:0xf
	v_cndmask_b32_e64 v30, v30, 0, s[22:23]
	v_add_u32_e32 v5, v30, v5
	s_nop 1
	v_mov_b32_dpp v30, v5 row_shr:2 row_mask:0xf bank_mask:0xf
	v_cndmask_b32_e64 v30, 0, v30, s[20:21]
	v_add_u32_e32 v5, v5, v30
	;; [unrolled: 4-line block ×4, first 2 shown]
	s_nop 1
	v_mov_b32_dpp v30, v5 row_bcast:15 row_mask:0xf bank_mask:0xf
	v_cndmask_b32_e64 v30, v30, 0, s[14:15]
	v_add_u32_e32 v5, v5, v30
	s_nop 1
	v_mov_b32_dpp v30, v5 row_bcast:31 row_mask:0xf bank_mask:0xf
	v_cndmask_b32_e64 v30, 0, v30, s[10:11]
	v_add_u32_e32 v5, v5, v30
	s_and_saveexec_b64 s[24:25], s[12:13]
	s_cbranch_execz .LBB44_11
; %bb.10:                               ;   in Loop: Header=BB44_3 Depth=1
	ds_write_b32 v21, v5 offset:5184
.LBB44_11:                              ;   in Loop: Header=BB44_3 Depth=1
	s_or_b64 exec, exec, s[24:25]
	s_waitcnt lgkmcnt(0)
	s_barrier
	s_and_saveexec_b64 s[24:25], s[4:5]
	s_cbranch_execz .LBB44_13
; %bb.12:                               ;   in Loop: Header=BB44_3 Depth=1
	ds_read_b32 v30, v18 offset:5184
	s_waitcnt lgkmcnt(0)
	s_nop 0
	v_mov_b32_dpp v31, v30 row_shr:1 row_mask:0xf bank_mask:0xf
	v_cndmask_b32_e64 v31, v31, 0, s[8:9]
	v_add_u32_e32 v30, v31, v30
	s_nop 1
	v_mov_b32_dpp v31, v30 row_shr:2 row_mask:0xf bank_mask:0xf
	v_cndmask_b32_e64 v31, 0, v31, s[6:7]
	v_add_u32_e32 v30, v30, v31
	ds_write_b32 v18, v30 offset:5184
.LBB44_13:                              ;   in Loop: Header=BB44_3 Depth=1
	s_or_b64 exec, exec, s[24:25]
	v_mov_b32_e32 v30, 0
	s_waitcnt lgkmcnt(0)
	s_barrier
	s_and_saveexec_b64 s[24:25], s[2:3]
	s_cbranch_execz .LBB44_15
; %bb.14:                               ;   in Loop: Header=BB44_3 Depth=1
	ds_read_b32 v30, v21 offset:5180
.LBB44_15:                              ;   in Loop: Header=BB44_3 Depth=1
	s_or_b64 exec, exec, s[24:25]
	s_waitcnt lgkmcnt(0)
	v_add_u32_e32 v5, v30, v5
	ds_bpermute_b32 v5, v20, v5
	ds_read_b32 v31, v26 offset:5192
	s_add_i32 s30, s30, 4
	s_cmp_ge_u32 s30, s31
	s_waitcnt lgkmcnt(1)
	v_cndmask_b32_e64 v5, v5, v30, s[0:1]
	s_waitcnt lgkmcnt(0)
	v_lshl_add_u32 v30, v31, 16, v5
	v_add_u32_e32 v31, v30, v6
	v_add_u32_e32 v6, v31, v7
	;; [unrolled: 1-line block ×7, first 2 shown]
	ds_write2_b64 v19, v[30:31], v[6:7] offset1:1
	ds_write2_b64 v19, v[8:9], v[2:3] offset0:2 offset1:3
	s_waitcnt lgkmcnt(0)
	s_barrier
	ds_read_u16 v2, v28
	v_and_b32_e32 v3, 0xffff, v29
	s_waitcnt lgkmcnt(0)
	v_add_lshl_u32 v4, v2, v3, 2
	s_cbranch_scc0 .LBB44_2
; %bb.16:
                                        ; implicit-def: $vgpr5
                                        ; implicit-def: $vgpr2_vgpr3
.LBB44_17:
	s_barrier
	ds_write_b32 v4, v27
	s_waitcnt lgkmcnt(0)
	s_barrier
	ds_read_b32 v1, v18
	v_add_u32_e32 v2, v4, v4
	s_waitcnt lgkmcnt(0)
	s_barrier
	ds_write_b64 v2, v[12:13]
	s_waitcnt lgkmcnt(0)
	s_barrier
	s_mov_b64 s[24:25], 0
	s_branch .LBB44_19
.LBB44_18:
	s_mov_b64 s[24:25], -1
                                        ; implicit-def: $vgpr1
.LBB44_19:
	v_add_co_u32_e32 v12, vcc, s26, v11
	v_addc_co_u32_e32 v13, vcc, 0, v22, vcc
	v_add_co_u32_e32 v14, vcc, s28, v14
	v_addc_co_u32_e32 v15, vcc, 0, v15, vcc
	s_and_b64 vcc, exec, s[24:25]
	s_cbranch_vccz .LBB44_117
; %bb.20:
	v_and_b32_e32 v22, 30, v24
	v_mov_b32_e32 v1, v10
	s_mov_b32 s30, 0
	s_mov_b64 s[26:27], 0
	v_mov_b32_e32 v2, 0
	v_mov_b32_e32 v3, v18
	s_branch .LBB44_22
.LBB44_21:                              ;   in Loop: Header=BB44_22 Depth=1
	s_or_b64 exec, exec, s[24:25]
	s_add_i32 s30, s30, 2
	v_cmp_eq_u32_e32 vcc, s30, v22
	s_or_b64 s[26:27], vcc, s[26:27]
	v_add_u32_e32 v3, 0x510, v3
	s_andn2_b64 exec, exec, s[26:27]
	s_cbranch_execz .LBB44_26
.LBB44_22:                              ; =>This Inner Loop Header: Depth=1
	s_or_b32 s24, s30, 1
	v_cmp_le_u32_e32 vcc, s24, v1
	v_cmp_le_u32_e64 s[24:25], s30, v10
	s_and_saveexec_b64 s[28:29], s[24:25]
	s_cbranch_execz .LBB44_24
; %bb.23:                               ;   in Loop: Header=BB44_22 Depth=1
	ds_write_b32 v3, v2
.LBB44_24:                              ;   in Loop: Header=BB44_22 Depth=1
	s_or_b64 exec, exec, s[28:29]
	s_and_saveexec_b64 s[24:25], vcc
	s_cbranch_execz .LBB44_21
; %bb.25:                               ;   in Loop: Header=BB44_22 Depth=1
	ds_write_b32 v3, v2 offset:648
	s_branch .LBB44_21
.LBB44_26:
	s_or_b64 exec, exec, s[26:27]
	s_waitcnt vmcnt(1)
	v_and_b32_e32 v2, 7, v23
	s_movk_i32 s24, 0xa2
	v_lshrrev_b32_e32 v3, 2, v23
	v_mad_u32_u24 v2, v2, s24, v0
	v_and_b32_e32 v3, 2, v3
	v_lshl_or_b32 v24, v2, 2, v3
	ds_read_u16 v25, v24
	s_waitcnt lgkmcnt(0)
	v_add_u16_e32 v2, 1, v25
	ds_write_b16 v24, v2
	s_waitcnt lgkmcnt(0)
	s_barrier
	ds_read2_b64 v[6:9], v19 offset1:1
	ds_read2_b64 v[2:5], v19 offset0:2 offset1:3
	s_waitcnt lgkmcnt(1)
	v_add_u32_e32 v26, v7, v6
	v_add3_u32 v26, v26, v8, v9
	s_waitcnt lgkmcnt(0)
	v_add3_u32 v26, v26, v2, v3
	v_add3_u32 v5, v26, v4, v5
	s_nop 1
	v_mov_b32_dpp v26, v5 row_shr:1 row_mask:0xf bank_mask:0xf
	v_cndmask_b32_e64 v26, v26, 0, s[22:23]
	v_add_u32_e32 v5, v26, v5
	s_nop 1
	v_mov_b32_dpp v26, v5 row_shr:2 row_mask:0xf bank_mask:0xf
	v_cndmask_b32_e64 v26, 0, v26, s[20:21]
	v_add_u32_e32 v5, v5, v26
	;; [unrolled: 4-line block ×4, first 2 shown]
	s_nop 1
	v_mov_b32_dpp v26, v5 row_bcast:15 row_mask:0xf bank_mask:0xf
	v_cndmask_b32_e64 v26, v26, 0, s[14:15]
	v_add_u32_e32 v5, v5, v26
	s_nop 1
	v_mov_b32_dpp v26, v5 row_bcast:31 row_mask:0xf bank_mask:0xf
	v_cndmask_b32_e64 v26, 0, v26, s[10:11]
	v_add_u32_e32 v26, v5, v26
	s_and_saveexec_b64 s[24:25], s[12:13]
	s_cbranch_execz .LBB44_28
; %bb.27:
	ds_write_b32 v21, v26 offset:5184
.LBB44_28:
	s_or_b64 exec, exec, s[24:25]
	s_waitcnt lgkmcnt(0)
	s_barrier
	s_and_saveexec_b64 s[24:25], s[4:5]
	s_cbranch_execz .LBB44_30
; %bb.29:
	ds_read_b32 v5, v18 offset:5184
	s_waitcnt lgkmcnt(0)
	s_nop 0
	v_mov_b32_dpp v27, v5 row_shr:1 row_mask:0xf bank_mask:0xf
	v_cndmask_b32_e64 v27, v27, 0, s[8:9]
	v_add_u32_e32 v5, v27, v5
	s_nop 1
	v_mov_b32_dpp v27, v5 row_shr:2 row_mask:0xf bank_mask:0xf
	v_cndmask_b32_e64 v27, 0, v27, s[6:7]
	v_add_u32_e32 v5, v5, v27
	ds_write_b32 v18, v5 offset:5184
.LBB44_30:
	s_or_b64 exec, exec, s[24:25]
	v_mov_b32_e32 v5, 0
	v_mov_b32_e32 v27, 0
	s_waitcnt lgkmcnt(0)
	s_barrier
	s_and_saveexec_b64 s[24:25], s[2:3]
	s_cbranch_execz .LBB44_32
; %bb.31:
	ds_read_b32 v27, v21 offset:5180
.LBB44_32:
	s_or_b64 exec, exec, s[24:25]
	s_waitcnt lgkmcnt(0)
	v_add_u32_e32 v26, v27, v26
	ds_bpermute_b32 v26, v20, v26
	ds_read_b32 v28, v5 offset:5192
	s_mov_b32 s30, 0
	s_mov_b64 s[26:27], 0
	s_waitcnt lgkmcnt(1)
	v_cndmask_b32_e64 v26, v26, v27, s[0:1]
	s_waitcnt lgkmcnt(0)
	v_lshl_add_u32 v26, v28, 16, v26
	v_add_u32_e32 v27, v26, v6
	v_add_u32_e32 v6, v27, v7
	;; [unrolled: 1-line block ×7, first 2 shown]
	ds_write2_b64 v19, v[26:27], v[6:7] offset1:1
	ds_write2_b64 v19, v[8:9], v[2:3] offset0:2 offset1:3
	s_waitcnt lgkmcnt(0)
	s_barrier
	ds_read_u16 v2, v24
	v_and_b32_e32 v3, 0xffff, v25
	s_waitcnt lgkmcnt(0)
	s_barrier
	v_add_lshl_u32 v2, v2, v3, 2
	ds_write_b32 v2, v23
	v_add_u32_e32 v2, v2, v2
	v_add_u32_e32 v23, v18, v11
	s_waitcnt lgkmcnt(0)
	s_barrier
	ds_read_b32 v24, v18
	s_waitcnt lgkmcnt(0)
	s_barrier
	s_waitcnt vmcnt(0)
	ds_write_b64 v2, v[16:17]
	s_waitcnt lgkmcnt(0)
	s_barrier
	ds_read_b64 v[16:17], v23
	v_mov_b32_e32 v2, v18
	s_waitcnt lgkmcnt(0)
	s_barrier
	s_branch .LBB44_34
.LBB44_33:                              ;   in Loop: Header=BB44_34 Depth=1
	s_or_b64 exec, exec, s[24:25]
	s_add_i32 s30, s30, 2
	v_cmp_eq_u32_e32 vcc, s30, v22
	s_or_b64 s[26:27], vcc, s[26:27]
	v_add_u32_e32 v2, 0x510, v2
	s_andn2_b64 exec, exec, s[26:27]
	s_cbranch_execz .LBB44_38
.LBB44_34:                              ; =>This Inner Loop Header: Depth=1
	s_or_b32 s24, s30, 1
	v_cmp_le_u32_e32 vcc, s24, v1
	v_cmp_le_u32_e64 s[24:25], s30, v10
	s_and_saveexec_b64 s[28:29], s[24:25]
	s_cbranch_execz .LBB44_36
; %bb.35:                               ;   in Loop: Header=BB44_34 Depth=1
	ds_write_b32 v2, v5
.LBB44_36:                              ;   in Loop: Header=BB44_34 Depth=1
	s_or_b64 exec, exec, s[28:29]
	s_and_saveexec_b64 s[24:25], vcc
	s_cbranch_execz .LBB44_33
; %bb.37:                               ;   in Loop: Header=BB44_34 Depth=1
	ds_write_b32 v2, v5 offset:648
	s_branch .LBB44_33
.LBB44_38:
	s_or_b64 exec, exec, s[26:27]
	v_bfe_u32 v2, v24, 4, 3
	s_movk_i32 s24, 0xa2
	v_lshrrev_b32_e32 v3, 6, v24
	v_mad_u32_u24 v2, v2, s24, v0
	v_and_b32_e32 v3, 2, v3
	v_lshl_or_b32 v25, v2, 2, v3
	ds_read_u16 v26, v25
	s_waitcnt lgkmcnt(0)
	v_add_u16_e32 v2, 1, v26
	ds_write_b16 v25, v2
	s_waitcnt lgkmcnt(0)
	s_barrier
	ds_read2_b64 v[6:9], v19 offset1:1
	ds_read2_b64 v[2:5], v19 offset0:2 offset1:3
	s_waitcnt lgkmcnt(1)
	v_add_u32_e32 v27, v7, v6
	v_add3_u32 v27, v27, v8, v9
	s_waitcnt lgkmcnt(0)
	v_add3_u32 v27, v27, v2, v3
	v_add3_u32 v5, v27, v4, v5
	s_nop 1
	v_mov_b32_dpp v27, v5 row_shr:1 row_mask:0xf bank_mask:0xf
	v_cndmask_b32_e64 v27, v27, 0, s[22:23]
	v_add_u32_e32 v5, v27, v5
	s_nop 1
	v_mov_b32_dpp v27, v5 row_shr:2 row_mask:0xf bank_mask:0xf
	v_cndmask_b32_e64 v27, 0, v27, s[20:21]
	v_add_u32_e32 v5, v5, v27
	;; [unrolled: 4-line block ×4, first 2 shown]
	s_nop 1
	v_mov_b32_dpp v27, v5 row_bcast:15 row_mask:0xf bank_mask:0xf
	v_cndmask_b32_e64 v27, v27, 0, s[14:15]
	v_add_u32_e32 v5, v5, v27
	s_nop 1
	v_mov_b32_dpp v27, v5 row_bcast:31 row_mask:0xf bank_mask:0xf
	v_cndmask_b32_e64 v27, 0, v27, s[10:11]
	v_add_u32_e32 v27, v5, v27
	s_and_saveexec_b64 s[24:25], s[12:13]
	s_cbranch_execz .LBB44_40
; %bb.39:
	ds_write_b32 v21, v27 offset:5184
.LBB44_40:
	s_or_b64 exec, exec, s[24:25]
	s_waitcnt lgkmcnt(0)
	s_barrier
	s_and_saveexec_b64 s[24:25], s[4:5]
	s_cbranch_execz .LBB44_42
; %bb.41:
	ds_read_b32 v5, v18 offset:5184
	s_waitcnt lgkmcnt(0)
	s_nop 0
	v_mov_b32_dpp v28, v5 row_shr:1 row_mask:0xf bank_mask:0xf
	v_cndmask_b32_e64 v28, v28, 0, s[8:9]
	v_add_u32_e32 v5, v28, v5
	s_nop 1
	v_mov_b32_dpp v28, v5 row_shr:2 row_mask:0xf bank_mask:0xf
	v_cndmask_b32_e64 v28, 0, v28, s[6:7]
	v_add_u32_e32 v5, v5, v28
	ds_write_b32 v18, v5 offset:5184
.LBB44_42:
	s_or_b64 exec, exec, s[24:25]
	v_mov_b32_e32 v5, 0
	v_mov_b32_e32 v28, 0
	s_waitcnt lgkmcnt(0)
	s_barrier
	s_and_saveexec_b64 s[24:25], s[2:3]
	s_cbranch_execz .LBB44_44
; %bb.43:
	ds_read_b32 v28, v21 offset:5180
.LBB44_44:
	s_or_b64 exec, exec, s[24:25]
	s_waitcnt lgkmcnt(0)
	v_add_u32_e32 v27, v28, v27
	ds_bpermute_b32 v27, v20, v27
	ds_read_b32 v29, v5 offset:5192
	s_mov_b32 s30, 0
	s_mov_b64 s[26:27], 0
	s_waitcnt lgkmcnt(1)
	v_cndmask_b32_e64 v27, v27, v28, s[0:1]
	s_waitcnt lgkmcnt(0)
	v_lshl_add_u32 v28, v29, 16, v27
	v_add_u32_e32 v29, v28, v6
	v_add_u32_e32 v6, v29, v7
	;; [unrolled: 1-line block ×7, first 2 shown]
	ds_write2_b64 v19, v[28:29], v[6:7] offset1:1
	ds_write2_b64 v19, v[8:9], v[2:3] offset0:2 offset1:3
	s_waitcnt lgkmcnt(0)
	s_barrier
	ds_read_u16 v2, v25
	v_and_b32_e32 v3, 0xffff, v26
	s_waitcnt lgkmcnt(0)
	s_barrier
	v_add_lshl_u32 v2, v2, v3, 2
	ds_write_b32 v2, v24
	v_add_u32_e32 v2, v2, v2
	s_waitcnt lgkmcnt(0)
	s_barrier
	ds_read_b32 v24, v18
	s_waitcnt lgkmcnt(0)
	s_barrier
	ds_write_b64 v2, v[16:17]
	s_waitcnt lgkmcnt(0)
	s_barrier
	ds_read_b64 v[16:17], v23
	v_mov_b32_e32 v2, v18
	s_waitcnt lgkmcnt(0)
	s_barrier
	s_branch .LBB44_46
.LBB44_45:                              ;   in Loop: Header=BB44_46 Depth=1
	s_or_b64 exec, exec, s[24:25]
	s_add_i32 s30, s30, 2
	v_cmp_eq_u32_e32 vcc, s30, v22
	s_or_b64 s[26:27], vcc, s[26:27]
	v_add_u32_e32 v2, 0x510, v2
	s_andn2_b64 exec, exec, s[26:27]
	s_cbranch_execz .LBB44_50
.LBB44_46:                              ; =>This Inner Loop Header: Depth=1
	s_or_b32 s24, s30, 1
	v_cmp_le_u32_e32 vcc, s24, v1
	v_cmp_le_u32_e64 s[24:25], s30, v10
	s_and_saveexec_b64 s[28:29], s[24:25]
	s_cbranch_execz .LBB44_48
; %bb.47:                               ;   in Loop: Header=BB44_46 Depth=1
	ds_write_b32 v2, v5
.LBB44_48:                              ;   in Loop: Header=BB44_46 Depth=1
	s_or_b64 exec, exec, s[28:29]
	s_and_saveexec_b64 s[24:25], vcc
	s_cbranch_execz .LBB44_45
; %bb.49:                               ;   in Loop: Header=BB44_46 Depth=1
	ds_write_b32 v2, v5 offset:648
	s_branch .LBB44_45
.LBB44_50:
	s_or_b64 exec, exec, s[26:27]
	v_bfe_u32 v2, v24, 8, 3
	s_movk_i32 s24, 0xa2
	v_lshrrev_b32_e32 v3, 10, v24
	v_mad_u32_u24 v2, v2, s24, v0
	v_and_b32_e32 v3, 2, v3
	v_lshl_or_b32 v25, v2, 2, v3
	ds_read_u16 v26, v25
	s_waitcnt lgkmcnt(0)
	v_add_u16_e32 v2, 1, v26
	ds_write_b16 v25, v2
	s_waitcnt lgkmcnt(0)
	s_barrier
	ds_read2_b64 v[6:9], v19 offset1:1
	ds_read2_b64 v[2:5], v19 offset0:2 offset1:3
	s_waitcnt lgkmcnt(1)
	v_add_u32_e32 v27, v7, v6
	v_add3_u32 v27, v27, v8, v9
	s_waitcnt lgkmcnt(0)
	v_add3_u32 v27, v27, v2, v3
	v_add3_u32 v5, v27, v4, v5
	s_nop 1
	v_mov_b32_dpp v27, v5 row_shr:1 row_mask:0xf bank_mask:0xf
	v_cndmask_b32_e64 v27, v27, 0, s[22:23]
	v_add_u32_e32 v5, v27, v5
	s_nop 1
	v_mov_b32_dpp v27, v5 row_shr:2 row_mask:0xf bank_mask:0xf
	v_cndmask_b32_e64 v27, 0, v27, s[20:21]
	v_add_u32_e32 v5, v5, v27
	;; [unrolled: 4-line block ×4, first 2 shown]
	s_nop 1
	v_mov_b32_dpp v27, v5 row_bcast:15 row_mask:0xf bank_mask:0xf
	v_cndmask_b32_e64 v27, v27, 0, s[14:15]
	v_add_u32_e32 v5, v5, v27
	s_nop 1
	v_mov_b32_dpp v27, v5 row_bcast:31 row_mask:0xf bank_mask:0xf
	v_cndmask_b32_e64 v27, 0, v27, s[10:11]
	v_add_u32_e32 v27, v5, v27
	s_and_saveexec_b64 s[24:25], s[12:13]
	s_cbranch_execz .LBB44_52
; %bb.51:
	ds_write_b32 v21, v27 offset:5184
.LBB44_52:
	s_or_b64 exec, exec, s[24:25]
	s_waitcnt lgkmcnt(0)
	s_barrier
	s_and_saveexec_b64 s[24:25], s[4:5]
	s_cbranch_execz .LBB44_54
; %bb.53:
	ds_read_b32 v5, v18 offset:5184
	s_waitcnt lgkmcnt(0)
	s_nop 0
	v_mov_b32_dpp v28, v5 row_shr:1 row_mask:0xf bank_mask:0xf
	v_cndmask_b32_e64 v28, v28, 0, s[8:9]
	v_add_u32_e32 v5, v28, v5
	s_nop 1
	v_mov_b32_dpp v28, v5 row_shr:2 row_mask:0xf bank_mask:0xf
	v_cndmask_b32_e64 v28, 0, v28, s[6:7]
	v_add_u32_e32 v5, v5, v28
	ds_write_b32 v18, v5 offset:5184
.LBB44_54:
	s_or_b64 exec, exec, s[24:25]
	v_mov_b32_e32 v5, 0
	v_mov_b32_e32 v28, 0
	s_waitcnt lgkmcnt(0)
	s_barrier
	s_and_saveexec_b64 s[24:25], s[2:3]
	s_cbranch_execz .LBB44_56
; %bb.55:
	ds_read_b32 v28, v21 offset:5180
.LBB44_56:
	s_or_b64 exec, exec, s[24:25]
	s_waitcnt lgkmcnt(0)
	v_add_u32_e32 v27, v28, v27
	ds_bpermute_b32 v27, v20, v27
	ds_read_b32 v29, v5 offset:5192
	s_mov_b32 s30, 0
	s_mov_b64 s[26:27], 0
	s_waitcnt lgkmcnt(1)
	v_cndmask_b32_e64 v27, v27, v28, s[0:1]
	s_waitcnt lgkmcnt(0)
	v_lshl_add_u32 v28, v29, 16, v27
	v_add_u32_e32 v29, v28, v6
	v_add_u32_e32 v6, v29, v7
	;; [unrolled: 1-line block ×7, first 2 shown]
	ds_write2_b64 v19, v[28:29], v[6:7] offset1:1
	ds_write2_b64 v19, v[8:9], v[2:3] offset0:2 offset1:3
	s_waitcnt lgkmcnt(0)
	s_barrier
	ds_read_u16 v2, v25
	v_and_b32_e32 v3, 0xffff, v26
	s_waitcnt lgkmcnt(0)
	s_barrier
	v_add_lshl_u32 v2, v2, v3, 2
	ds_write_b32 v2, v24
	v_add_u32_e32 v2, v2, v2
	s_waitcnt lgkmcnt(0)
	s_barrier
	ds_read_b32 v24, v18
	s_waitcnt lgkmcnt(0)
	s_barrier
	ds_write_b64 v2, v[16:17]
	s_waitcnt lgkmcnt(0)
	s_barrier
	ds_read_b64 v[16:17], v23
	v_mov_b32_e32 v2, v18
	s_waitcnt lgkmcnt(0)
	s_barrier
	s_branch .LBB44_58
.LBB44_57:                              ;   in Loop: Header=BB44_58 Depth=1
	s_or_b64 exec, exec, s[24:25]
	s_add_i32 s30, s30, 2
	v_cmp_eq_u32_e32 vcc, s30, v22
	s_or_b64 s[26:27], vcc, s[26:27]
	v_add_u32_e32 v2, 0x510, v2
	s_andn2_b64 exec, exec, s[26:27]
	s_cbranch_execz .LBB44_62
.LBB44_58:                              ; =>This Inner Loop Header: Depth=1
	s_or_b32 s24, s30, 1
	v_cmp_le_u32_e32 vcc, s24, v1
	v_cmp_le_u32_e64 s[24:25], s30, v10
	s_and_saveexec_b64 s[28:29], s[24:25]
	s_cbranch_execz .LBB44_60
; %bb.59:                               ;   in Loop: Header=BB44_58 Depth=1
	ds_write_b32 v2, v5
.LBB44_60:                              ;   in Loop: Header=BB44_58 Depth=1
	s_or_b64 exec, exec, s[28:29]
	s_and_saveexec_b64 s[24:25], vcc
	s_cbranch_execz .LBB44_57
; %bb.61:                               ;   in Loop: Header=BB44_58 Depth=1
	ds_write_b32 v2, v5 offset:648
	s_branch .LBB44_57
.LBB44_62:
	s_or_b64 exec, exec, s[26:27]
	v_bfe_u32 v2, v24, 12, 3
	s_movk_i32 s24, 0xa2
	v_lshrrev_b32_e32 v3, 14, v24
	v_mad_u32_u24 v2, v2, s24, v0
	v_and_b32_e32 v3, 2, v3
	v_lshl_or_b32 v25, v2, 2, v3
	ds_read_u16 v26, v25
	s_waitcnt lgkmcnt(0)
	v_add_u16_e32 v2, 1, v26
	ds_write_b16 v25, v2
	s_waitcnt lgkmcnt(0)
	s_barrier
	ds_read2_b64 v[6:9], v19 offset1:1
	ds_read2_b64 v[2:5], v19 offset0:2 offset1:3
	s_waitcnt lgkmcnt(1)
	v_add_u32_e32 v27, v7, v6
	v_add3_u32 v27, v27, v8, v9
	s_waitcnt lgkmcnt(0)
	v_add3_u32 v27, v27, v2, v3
	v_add3_u32 v5, v27, v4, v5
	s_nop 1
	v_mov_b32_dpp v27, v5 row_shr:1 row_mask:0xf bank_mask:0xf
	v_cndmask_b32_e64 v27, v27, 0, s[22:23]
	v_add_u32_e32 v5, v27, v5
	s_nop 1
	v_mov_b32_dpp v27, v5 row_shr:2 row_mask:0xf bank_mask:0xf
	v_cndmask_b32_e64 v27, 0, v27, s[20:21]
	v_add_u32_e32 v5, v5, v27
	;; [unrolled: 4-line block ×4, first 2 shown]
	s_nop 1
	v_mov_b32_dpp v27, v5 row_bcast:15 row_mask:0xf bank_mask:0xf
	v_cndmask_b32_e64 v27, v27, 0, s[14:15]
	v_add_u32_e32 v5, v5, v27
	s_nop 1
	v_mov_b32_dpp v27, v5 row_bcast:31 row_mask:0xf bank_mask:0xf
	v_cndmask_b32_e64 v27, 0, v27, s[10:11]
	v_add_u32_e32 v27, v5, v27
	s_and_saveexec_b64 s[24:25], s[12:13]
	s_cbranch_execz .LBB44_64
; %bb.63:
	ds_write_b32 v21, v27 offset:5184
.LBB44_64:
	s_or_b64 exec, exec, s[24:25]
	s_waitcnt lgkmcnt(0)
	s_barrier
	s_and_saveexec_b64 s[24:25], s[4:5]
	s_cbranch_execz .LBB44_66
; %bb.65:
	ds_read_b32 v5, v18 offset:5184
	s_waitcnt lgkmcnt(0)
	s_nop 0
	v_mov_b32_dpp v28, v5 row_shr:1 row_mask:0xf bank_mask:0xf
	v_cndmask_b32_e64 v28, v28, 0, s[8:9]
	v_add_u32_e32 v5, v28, v5
	s_nop 1
	v_mov_b32_dpp v28, v5 row_shr:2 row_mask:0xf bank_mask:0xf
	v_cndmask_b32_e64 v28, 0, v28, s[6:7]
	v_add_u32_e32 v5, v5, v28
	ds_write_b32 v18, v5 offset:5184
.LBB44_66:
	s_or_b64 exec, exec, s[24:25]
	v_mov_b32_e32 v5, 0
	v_mov_b32_e32 v28, 0
	s_waitcnt lgkmcnt(0)
	s_barrier
	s_and_saveexec_b64 s[24:25], s[2:3]
	s_cbranch_execz .LBB44_68
; %bb.67:
	ds_read_b32 v28, v21 offset:5180
.LBB44_68:
	s_or_b64 exec, exec, s[24:25]
	s_waitcnt lgkmcnt(0)
	v_add_u32_e32 v27, v28, v27
	ds_bpermute_b32 v27, v20, v27
	ds_read_b32 v29, v5 offset:5192
	s_mov_b32 s30, 0
	s_mov_b64 s[26:27], 0
	s_waitcnt lgkmcnt(1)
	v_cndmask_b32_e64 v27, v27, v28, s[0:1]
	s_waitcnt lgkmcnt(0)
	v_lshl_add_u32 v28, v29, 16, v27
	v_add_u32_e32 v29, v28, v6
	v_add_u32_e32 v6, v29, v7
	;; [unrolled: 1-line block ×7, first 2 shown]
	ds_write2_b64 v19, v[28:29], v[6:7] offset1:1
	ds_write2_b64 v19, v[8:9], v[2:3] offset0:2 offset1:3
	s_waitcnt lgkmcnt(0)
	s_barrier
	ds_read_u16 v2, v25
	v_and_b32_e32 v3, 0xffff, v26
	s_waitcnt lgkmcnt(0)
	s_barrier
	v_add_lshl_u32 v2, v2, v3, 2
	ds_write_b32 v2, v24
	v_add_u32_e32 v2, v2, v2
	s_waitcnt lgkmcnt(0)
	s_barrier
	ds_read_b32 v24, v18
	s_waitcnt lgkmcnt(0)
	s_barrier
	ds_write_b64 v2, v[16:17]
	s_waitcnt lgkmcnt(0)
	s_barrier
	ds_read_b64 v[16:17], v23
	v_mov_b32_e32 v2, v18
	s_waitcnt lgkmcnt(0)
	s_barrier
	s_branch .LBB44_70
.LBB44_69:                              ;   in Loop: Header=BB44_70 Depth=1
	s_or_b64 exec, exec, s[24:25]
	s_add_i32 s30, s30, 2
	v_cmp_eq_u32_e32 vcc, s30, v22
	s_or_b64 s[26:27], vcc, s[26:27]
	v_add_u32_e32 v2, 0x510, v2
	s_andn2_b64 exec, exec, s[26:27]
	s_cbranch_execz .LBB44_74
.LBB44_70:                              ; =>This Inner Loop Header: Depth=1
	s_or_b32 s24, s30, 1
	v_cmp_le_u32_e32 vcc, s24, v1
	v_cmp_le_u32_e64 s[24:25], s30, v10
	s_and_saveexec_b64 s[28:29], s[24:25]
	s_cbranch_execz .LBB44_72
; %bb.71:                               ;   in Loop: Header=BB44_70 Depth=1
	ds_write_b32 v2, v5
.LBB44_72:                              ;   in Loop: Header=BB44_70 Depth=1
	s_or_b64 exec, exec, s[28:29]
	s_and_saveexec_b64 s[24:25], vcc
	s_cbranch_execz .LBB44_69
; %bb.73:                               ;   in Loop: Header=BB44_70 Depth=1
	ds_write_b32 v2, v5 offset:648
	s_branch .LBB44_69
.LBB44_74:
	s_or_b64 exec, exec, s[26:27]
	v_bfe_u32 v2, v24, 16, 3
	s_movk_i32 s24, 0xa2
	v_lshrrev_b32_e32 v3, 18, v24
	v_mad_u32_u24 v2, v2, s24, v0
	v_and_b32_e32 v3, 2, v3
	v_lshl_or_b32 v25, v2, 2, v3
	ds_read_u16 v26, v25
	s_waitcnt lgkmcnt(0)
	v_add_u16_e32 v2, 1, v26
	ds_write_b16 v25, v2
	s_waitcnt lgkmcnt(0)
	s_barrier
	ds_read2_b64 v[6:9], v19 offset1:1
	ds_read2_b64 v[2:5], v19 offset0:2 offset1:3
	s_waitcnt lgkmcnt(1)
	v_add_u32_e32 v27, v7, v6
	v_add3_u32 v27, v27, v8, v9
	s_waitcnt lgkmcnt(0)
	v_add3_u32 v27, v27, v2, v3
	v_add3_u32 v5, v27, v4, v5
	s_nop 1
	v_mov_b32_dpp v27, v5 row_shr:1 row_mask:0xf bank_mask:0xf
	v_cndmask_b32_e64 v27, v27, 0, s[22:23]
	v_add_u32_e32 v5, v27, v5
	s_nop 1
	v_mov_b32_dpp v27, v5 row_shr:2 row_mask:0xf bank_mask:0xf
	v_cndmask_b32_e64 v27, 0, v27, s[20:21]
	v_add_u32_e32 v5, v5, v27
	;; [unrolled: 4-line block ×4, first 2 shown]
	s_nop 1
	v_mov_b32_dpp v27, v5 row_bcast:15 row_mask:0xf bank_mask:0xf
	v_cndmask_b32_e64 v27, v27, 0, s[14:15]
	v_add_u32_e32 v5, v5, v27
	s_nop 1
	v_mov_b32_dpp v27, v5 row_bcast:31 row_mask:0xf bank_mask:0xf
	v_cndmask_b32_e64 v27, 0, v27, s[10:11]
	v_add_u32_e32 v27, v5, v27
	s_and_saveexec_b64 s[24:25], s[12:13]
	s_cbranch_execz .LBB44_76
; %bb.75:
	ds_write_b32 v21, v27 offset:5184
.LBB44_76:
	s_or_b64 exec, exec, s[24:25]
	s_waitcnt lgkmcnt(0)
	s_barrier
	s_and_saveexec_b64 s[24:25], s[4:5]
	s_cbranch_execz .LBB44_78
; %bb.77:
	ds_read_b32 v5, v18 offset:5184
	s_waitcnt lgkmcnt(0)
	s_nop 0
	v_mov_b32_dpp v28, v5 row_shr:1 row_mask:0xf bank_mask:0xf
	v_cndmask_b32_e64 v28, v28, 0, s[8:9]
	v_add_u32_e32 v5, v28, v5
	s_nop 1
	v_mov_b32_dpp v28, v5 row_shr:2 row_mask:0xf bank_mask:0xf
	v_cndmask_b32_e64 v28, 0, v28, s[6:7]
	v_add_u32_e32 v5, v5, v28
	ds_write_b32 v18, v5 offset:5184
.LBB44_78:
	s_or_b64 exec, exec, s[24:25]
	v_mov_b32_e32 v5, 0
	v_mov_b32_e32 v28, 0
	s_waitcnt lgkmcnt(0)
	s_barrier
	s_and_saveexec_b64 s[24:25], s[2:3]
	s_cbranch_execz .LBB44_80
; %bb.79:
	ds_read_b32 v28, v21 offset:5180
.LBB44_80:
	s_or_b64 exec, exec, s[24:25]
	s_waitcnt lgkmcnt(0)
	v_add_u32_e32 v27, v28, v27
	ds_bpermute_b32 v27, v20, v27
	ds_read_b32 v29, v5 offset:5192
	s_mov_b32 s30, 0
	s_mov_b64 s[26:27], 0
	s_waitcnt lgkmcnt(1)
	v_cndmask_b32_e64 v27, v27, v28, s[0:1]
	s_waitcnt lgkmcnt(0)
	v_lshl_add_u32 v28, v29, 16, v27
	v_add_u32_e32 v29, v28, v6
	v_add_u32_e32 v6, v29, v7
	;; [unrolled: 1-line block ×7, first 2 shown]
	ds_write2_b64 v19, v[28:29], v[6:7] offset1:1
	ds_write2_b64 v19, v[8:9], v[2:3] offset0:2 offset1:3
	s_waitcnt lgkmcnt(0)
	s_barrier
	ds_read_u16 v2, v25
	v_and_b32_e32 v3, 0xffff, v26
	s_waitcnt lgkmcnt(0)
	s_barrier
	v_add_lshl_u32 v2, v2, v3, 2
	ds_write_b32 v2, v24
	v_add_u32_e32 v2, v2, v2
	s_waitcnt lgkmcnt(0)
	s_barrier
	ds_read_b32 v24, v18
	s_waitcnt lgkmcnt(0)
	s_barrier
	ds_write_b64 v2, v[16:17]
	s_waitcnt lgkmcnt(0)
	s_barrier
	ds_read_b64 v[16:17], v23
	v_mov_b32_e32 v2, v18
	s_waitcnt lgkmcnt(0)
	s_barrier
	s_branch .LBB44_82
.LBB44_81:                              ;   in Loop: Header=BB44_82 Depth=1
	s_or_b64 exec, exec, s[24:25]
	s_add_i32 s30, s30, 2
	v_cmp_eq_u32_e32 vcc, s30, v22
	s_or_b64 s[26:27], vcc, s[26:27]
	v_add_u32_e32 v2, 0x510, v2
	s_andn2_b64 exec, exec, s[26:27]
	s_cbranch_execz .LBB44_86
.LBB44_82:                              ; =>This Inner Loop Header: Depth=1
	s_or_b32 s24, s30, 1
	v_cmp_le_u32_e32 vcc, s24, v1
	v_cmp_le_u32_e64 s[24:25], s30, v10
	s_and_saveexec_b64 s[28:29], s[24:25]
	s_cbranch_execz .LBB44_84
; %bb.83:                               ;   in Loop: Header=BB44_82 Depth=1
	ds_write_b32 v2, v5
.LBB44_84:                              ;   in Loop: Header=BB44_82 Depth=1
	s_or_b64 exec, exec, s[28:29]
	s_and_saveexec_b64 s[24:25], vcc
	s_cbranch_execz .LBB44_81
; %bb.85:                               ;   in Loop: Header=BB44_82 Depth=1
	ds_write_b32 v2, v5 offset:648
	s_branch .LBB44_81
.LBB44_86:
	s_or_b64 exec, exec, s[26:27]
	v_bfe_u32 v2, v24, 20, 3
	s_movk_i32 s24, 0xa2
	v_lshrrev_b32_e32 v3, 22, v24
	v_mad_u32_u24 v2, v2, s24, v0
	v_and_b32_e32 v3, 2, v3
	v_lshl_or_b32 v25, v2, 2, v3
	ds_read_u16 v26, v25
	s_waitcnt lgkmcnt(0)
	v_add_u16_e32 v2, 1, v26
	ds_write_b16 v25, v2
	s_waitcnt lgkmcnt(0)
	s_barrier
	ds_read2_b64 v[6:9], v19 offset1:1
	ds_read2_b64 v[2:5], v19 offset0:2 offset1:3
	s_waitcnt lgkmcnt(1)
	v_add_u32_e32 v27, v7, v6
	v_add3_u32 v27, v27, v8, v9
	s_waitcnt lgkmcnt(0)
	v_add3_u32 v27, v27, v2, v3
	v_add3_u32 v5, v27, v4, v5
	s_nop 1
	v_mov_b32_dpp v27, v5 row_shr:1 row_mask:0xf bank_mask:0xf
	v_cndmask_b32_e64 v27, v27, 0, s[22:23]
	v_add_u32_e32 v5, v27, v5
	s_nop 1
	v_mov_b32_dpp v27, v5 row_shr:2 row_mask:0xf bank_mask:0xf
	v_cndmask_b32_e64 v27, 0, v27, s[20:21]
	v_add_u32_e32 v5, v5, v27
	;; [unrolled: 4-line block ×4, first 2 shown]
	s_nop 1
	v_mov_b32_dpp v27, v5 row_bcast:15 row_mask:0xf bank_mask:0xf
	v_cndmask_b32_e64 v27, v27, 0, s[14:15]
	v_add_u32_e32 v5, v5, v27
	s_nop 1
	v_mov_b32_dpp v27, v5 row_bcast:31 row_mask:0xf bank_mask:0xf
	v_cndmask_b32_e64 v27, 0, v27, s[10:11]
	v_add_u32_e32 v27, v5, v27
	s_and_saveexec_b64 s[24:25], s[12:13]
	s_cbranch_execz .LBB44_88
; %bb.87:
	ds_write_b32 v21, v27 offset:5184
.LBB44_88:
	s_or_b64 exec, exec, s[24:25]
	s_waitcnt lgkmcnt(0)
	s_barrier
	s_and_saveexec_b64 s[24:25], s[4:5]
	s_cbranch_execz .LBB44_90
; %bb.89:
	ds_read_b32 v5, v18 offset:5184
	s_waitcnt lgkmcnt(0)
	s_nop 0
	v_mov_b32_dpp v28, v5 row_shr:1 row_mask:0xf bank_mask:0xf
	v_cndmask_b32_e64 v28, v28, 0, s[8:9]
	v_add_u32_e32 v5, v28, v5
	s_nop 1
	v_mov_b32_dpp v28, v5 row_shr:2 row_mask:0xf bank_mask:0xf
	v_cndmask_b32_e64 v28, 0, v28, s[6:7]
	v_add_u32_e32 v5, v5, v28
	ds_write_b32 v18, v5 offset:5184
.LBB44_90:
	s_or_b64 exec, exec, s[24:25]
	v_mov_b32_e32 v5, 0
	v_mov_b32_e32 v28, 0
	s_waitcnt lgkmcnt(0)
	s_barrier
	s_and_saveexec_b64 s[24:25], s[2:3]
	s_cbranch_execz .LBB44_92
; %bb.91:
	ds_read_b32 v28, v21 offset:5180
.LBB44_92:
	s_or_b64 exec, exec, s[24:25]
	s_waitcnt lgkmcnt(0)
	v_add_u32_e32 v27, v28, v27
	ds_bpermute_b32 v27, v20, v27
	ds_read_b32 v29, v5 offset:5192
	s_mov_b32 s30, 0
	s_mov_b64 s[26:27], 0
	s_waitcnt lgkmcnt(1)
	v_cndmask_b32_e64 v27, v27, v28, s[0:1]
	s_waitcnt lgkmcnt(0)
	v_lshl_add_u32 v28, v29, 16, v27
	v_add_u32_e32 v29, v28, v6
	v_add_u32_e32 v6, v29, v7
	;; [unrolled: 1-line block ×7, first 2 shown]
	ds_write2_b64 v19, v[28:29], v[6:7] offset1:1
	ds_write2_b64 v19, v[8:9], v[2:3] offset0:2 offset1:3
	s_waitcnt lgkmcnt(0)
	s_barrier
	ds_read_u16 v2, v25
	v_and_b32_e32 v3, 0xffff, v26
	s_waitcnt lgkmcnt(0)
	s_barrier
	v_add_lshl_u32 v2, v2, v3, 2
	ds_write_b32 v2, v24
	v_add_u32_e32 v2, v2, v2
	s_waitcnt lgkmcnt(0)
	s_barrier
	ds_read_b32 v24, v18
	s_waitcnt lgkmcnt(0)
	s_barrier
	ds_write_b64 v2, v[16:17]
	s_waitcnt lgkmcnt(0)
	s_barrier
	ds_read_b64 v[16:17], v23
	v_mov_b32_e32 v2, v18
	s_waitcnt lgkmcnt(0)
	s_barrier
	s_branch .LBB44_94
.LBB44_93:                              ;   in Loop: Header=BB44_94 Depth=1
	s_or_b64 exec, exec, s[24:25]
	s_add_i32 s30, s30, 2
	v_cmp_eq_u32_e32 vcc, s30, v22
	s_or_b64 s[26:27], vcc, s[26:27]
	v_add_u32_e32 v2, 0x510, v2
	s_andn2_b64 exec, exec, s[26:27]
	s_cbranch_execz .LBB44_98
.LBB44_94:                              ; =>This Inner Loop Header: Depth=1
	s_or_b32 s24, s30, 1
	v_cmp_le_u32_e32 vcc, s24, v1
	v_cmp_le_u32_e64 s[24:25], s30, v10
	s_and_saveexec_b64 s[28:29], s[24:25]
	s_cbranch_execz .LBB44_96
; %bb.95:                               ;   in Loop: Header=BB44_94 Depth=1
	ds_write_b32 v2, v5
.LBB44_96:                              ;   in Loop: Header=BB44_94 Depth=1
	s_or_b64 exec, exec, s[28:29]
	s_and_saveexec_b64 s[24:25], vcc
	s_cbranch_execz .LBB44_93
; %bb.97:                               ;   in Loop: Header=BB44_94 Depth=1
	ds_write_b32 v2, v5 offset:648
	s_branch .LBB44_93
.LBB44_98:
	s_or_b64 exec, exec, s[26:27]
	v_bfe_u32 v2, v24, 24, 3
	s_movk_i32 s24, 0xa2
	v_lshrrev_b32_e32 v3, 26, v24
	v_mad_u32_u24 v2, v2, s24, v0
	v_and_b32_e32 v3, 2, v3
	v_lshl_or_b32 v25, v2, 2, v3
	ds_read_u16 v26, v25
	s_waitcnt lgkmcnt(0)
	v_add_u16_e32 v2, 1, v26
	ds_write_b16 v25, v2
	s_waitcnt lgkmcnt(0)
	s_barrier
	ds_read2_b64 v[6:9], v19 offset1:1
	ds_read2_b64 v[2:5], v19 offset0:2 offset1:3
	s_waitcnt lgkmcnt(1)
	v_add_u32_e32 v27, v7, v6
	v_add3_u32 v27, v27, v8, v9
	s_waitcnt lgkmcnt(0)
	v_add3_u32 v27, v27, v2, v3
	v_add3_u32 v5, v27, v4, v5
	s_nop 1
	v_mov_b32_dpp v27, v5 row_shr:1 row_mask:0xf bank_mask:0xf
	v_cndmask_b32_e64 v27, v27, 0, s[22:23]
	v_add_u32_e32 v5, v27, v5
	s_nop 1
	v_mov_b32_dpp v27, v5 row_shr:2 row_mask:0xf bank_mask:0xf
	v_cndmask_b32_e64 v27, 0, v27, s[20:21]
	v_add_u32_e32 v5, v5, v27
	;; [unrolled: 4-line block ×4, first 2 shown]
	s_nop 1
	v_mov_b32_dpp v27, v5 row_bcast:15 row_mask:0xf bank_mask:0xf
	v_cndmask_b32_e64 v27, v27, 0, s[14:15]
	v_add_u32_e32 v5, v5, v27
	s_nop 1
	v_mov_b32_dpp v27, v5 row_bcast:31 row_mask:0xf bank_mask:0xf
	v_cndmask_b32_e64 v27, 0, v27, s[10:11]
	v_add_u32_e32 v27, v5, v27
	s_and_saveexec_b64 s[24:25], s[12:13]
	s_cbranch_execz .LBB44_100
; %bb.99:
	ds_write_b32 v21, v27 offset:5184
.LBB44_100:
	s_or_b64 exec, exec, s[24:25]
	s_waitcnt lgkmcnt(0)
	s_barrier
	s_and_saveexec_b64 s[24:25], s[4:5]
	s_cbranch_execz .LBB44_102
; %bb.101:
	ds_read_b32 v5, v18 offset:5184
	s_waitcnt lgkmcnt(0)
	s_nop 0
	v_mov_b32_dpp v28, v5 row_shr:1 row_mask:0xf bank_mask:0xf
	v_cndmask_b32_e64 v28, v28, 0, s[8:9]
	v_add_u32_e32 v5, v28, v5
	s_nop 1
	v_mov_b32_dpp v28, v5 row_shr:2 row_mask:0xf bank_mask:0xf
	v_cndmask_b32_e64 v28, 0, v28, s[6:7]
	v_add_u32_e32 v5, v5, v28
	ds_write_b32 v18, v5 offset:5184
.LBB44_102:
	s_or_b64 exec, exec, s[24:25]
	v_mov_b32_e32 v5, 0
	v_mov_b32_e32 v28, 0
	s_waitcnt lgkmcnt(0)
	s_barrier
	s_and_saveexec_b64 s[24:25], s[2:3]
	s_cbranch_execz .LBB44_104
; %bb.103:
	ds_read_b32 v28, v21 offset:5180
.LBB44_104:
	s_or_b64 exec, exec, s[24:25]
	s_waitcnt lgkmcnt(0)
	v_add_u32_e32 v27, v28, v27
	ds_bpermute_b32 v27, v20, v27
	ds_read_b32 v29, v5 offset:5192
	s_mov_b32 s30, 0
	s_mov_b64 s[26:27], 0
	s_waitcnt lgkmcnt(1)
	v_cndmask_b32_e64 v27, v27, v28, s[0:1]
	s_waitcnt lgkmcnt(0)
	v_lshl_add_u32 v28, v29, 16, v27
	v_add_u32_e32 v29, v28, v6
	v_add_u32_e32 v6, v29, v7
	;; [unrolled: 1-line block ×7, first 2 shown]
	ds_write2_b64 v19, v[28:29], v[6:7] offset1:1
	ds_write2_b64 v19, v[8:9], v[2:3] offset0:2 offset1:3
	s_waitcnt lgkmcnt(0)
	s_barrier
	ds_read_u16 v2, v25
	v_and_b32_e32 v3, 0xffff, v26
	s_waitcnt lgkmcnt(0)
	s_barrier
	v_add_lshl_u32 v2, v2, v3, 2
	ds_write_b32 v2, v24
	v_add_u32_e32 v2, v2, v2
	s_waitcnt lgkmcnt(0)
	s_barrier
	ds_read_b32 v24, v18
	s_waitcnt lgkmcnt(0)
	s_barrier
	ds_write_b64 v2, v[16:17]
	s_waitcnt lgkmcnt(0)
	s_barrier
	ds_read_b64 v[8:9], v23
	v_mov_b32_e32 v2, v18
	s_waitcnt lgkmcnt(0)
	s_barrier
	s_branch .LBB44_106
.LBB44_105:                             ;   in Loop: Header=BB44_106 Depth=1
	s_or_b64 exec, exec, s[24:25]
	s_add_i32 s30, s30, 2
	v_cmp_eq_u32_e32 vcc, s30, v22
	s_or_b64 s[26:27], vcc, s[26:27]
	v_add_u32_e32 v2, 0x510, v2
	s_andn2_b64 exec, exec, s[26:27]
	s_cbranch_execz .LBB44_110
.LBB44_106:                             ; =>This Inner Loop Header: Depth=1
	s_or_b32 s24, s30, 1
	v_cmp_le_u32_e32 vcc, s24, v1
	v_cmp_le_u32_e64 s[24:25], s30, v10
	s_and_saveexec_b64 s[28:29], s[24:25]
	s_cbranch_execz .LBB44_108
; %bb.107:                              ;   in Loop: Header=BB44_106 Depth=1
	ds_write_b32 v2, v5
.LBB44_108:                             ;   in Loop: Header=BB44_106 Depth=1
	s_or_b64 exec, exec, s[28:29]
	s_and_saveexec_b64 s[24:25], vcc
	s_cbranch_execz .LBB44_105
; %bb.109:                              ;   in Loop: Header=BB44_106 Depth=1
	ds_write_b32 v2, v5 offset:648
	s_branch .LBB44_105
.LBB44_110:
	s_or_b64 exec, exec, s[26:27]
	v_bfe_u32 v1, v24, 28, 3
	s_movk_i32 s24, 0xa2
	v_mad_u32_u24 v0, v1, s24, v0
	v_alignbit_b32 v0, v0, v24, 31
	v_lshlrev_b32_e32 v10, 1, v0
	ds_read_u16 v16, v10
	s_waitcnt lgkmcnt(0)
	v_add_u16_e32 v0, 1, v16
	ds_write_b16 v10, v0
	s_waitcnt lgkmcnt(0)
	s_barrier
	ds_read2_b64 v[4:7], v19 offset1:1
	ds_read2_b64 v[0:3], v19 offset0:2 offset1:3
	s_waitcnt lgkmcnt(1)
	v_add_u32_e32 v17, v5, v4
	v_add3_u32 v17, v17, v6, v7
	s_waitcnt lgkmcnt(0)
	v_add3_u32 v17, v17, v0, v1
	v_add3_u32 v3, v17, v2, v3
	s_nop 1
	v_mov_b32_dpp v17, v3 row_shr:1 row_mask:0xf bank_mask:0xf
	v_cndmask_b32_e64 v17, v17, 0, s[22:23]
	v_add_u32_e32 v3, v17, v3
	s_nop 1
	v_mov_b32_dpp v17, v3 row_shr:2 row_mask:0xf bank_mask:0xf
	v_cndmask_b32_e64 v17, 0, v17, s[20:21]
	v_add_u32_e32 v3, v3, v17
	;; [unrolled: 4-line block ×4, first 2 shown]
	s_nop 1
	v_mov_b32_dpp v17, v3 row_bcast:15 row_mask:0xf bank_mask:0xf
	v_cndmask_b32_e64 v17, v17, 0, s[14:15]
	v_add_u32_e32 v3, v3, v17
	s_nop 1
	v_mov_b32_dpp v17, v3 row_bcast:31 row_mask:0xf bank_mask:0xf
	v_cndmask_b32_e64 v17, 0, v17, s[10:11]
	v_add_u32_e32 v3, v3, v17
	s_and_saveexec_b64 s[10:11], s[12:13]
	s_cbranch_execz .LBB44_112
; %bb.111:
	ds_write_b32 v21, v3 offset:5184
.LBB44_112:
	s_or_b64 exec, exec, s[10:11]
	s_waitcnt lgkmcnt(0)
	s_barrier
	s_and_saveexec_b64 s[10:11], s[4:5]
	s_cbranch_execz .LBB44_114
; %bb.113:
	ds_read_b32 v17, v18 offset:5184
	s_waitcnt lgkmcnt(0)
	s_nop 0
	v_mov_b32_dpp v22, v17 row_shr:1 row_mask:0xf bank_mask:0xf
	v_cndmask_b32_e64 v22, v22, 0, s[8:9]
	v_add_u32_e32 v17, v22, v17
	s_nop 1
	v_mov_b32_dpp v22, v17 row_shr:2 row_mask:0xf bank_mask:0xf
	v_cndmask_b32_e64 v22, 0, v22, s[6:7]
	v_add_u32_e32 v17, v17, v22
	ds_write_b32 v18, v17 offset:5184
.LBB44_114:
	s_or_b64 exec, exec, s[10:11]
	v_mov_b32_e32 v17, 0
	v_mov_b32_e32 v22, 0
	s_waitcnt lgkmcnt(0)
	s_barrier
	s_and_saveexec_b64 s[4:5], s[2:3]
	s_cbranch_execz .LBB44_116
; %bb.115:
	ds_read_b32 v22, v21 offset:5180
.LBB44_116:
	s_or_b64 exec, exec, s[4:5]
	s_waitcnt lgkmcnt(0)
	v_add_u32_e32 v3, v22, v3
	ds_bpermute_b32 v3, v20, v3
	ds_read_b32 v17, v17 offset:5192
	s_waitcnt lgkmcnt(1)
	v_cndmask_b32_e64 v3, v3, v22, s[0:1]
	s_waitcnt lgkmcnt(0)
	v_lshl_add_u32 v20, v17, 16, v3
	v_add_u32_e32 v21, v20, v4
	v_add_u32_e32 v4, v21, v5
	v_add_u32_e32 v5, v4, v6
	v_add_u32_e32 v6, v5, v7
	v_add_u32_e32 v7, v6, v0
	v_add_u32_e32 v0, v7, v1
	v_add_u32_e32 v1, v0, v2
	ds_write2_b64 v19, v[20:21], v[4:5] offset1:1
	ds_write2_b64 v19, v[6:7], v[0:1] offset0:2 offset1:3
	s_waitcnt lgkmcnt(0)
	s_barrier
	ds_read_u16 v0, v10
	v_and_b32_e32 v1, 0xffff, v16
	s_waitcnt lgkmcnt(0)
	s_barrier
	v_add_lshl_u32 v0, v0, v1, 2
	ds_write_b32 v0, v24
	s_waitcnt lgkmcnt(0)
	s_barrier
	ds_read_b32 v1, v18
	v_add_u32_e32 v0, v0, v0
	s_waitcnt lgkmcnt(0)
	s_barrier
	ds_write_b64 v0, v[8:9]
	s_waitcnt lgkmcnt(0)
	s_barrier
.LBB44_117:
	v_add_u32_e32 v0, v18, v11
	ds_read_b64 v[2:3], v0
	global_store_dword v[12:13], v1, off
	s_waitcnt lgkmcnt(0)
	global_store_dwordx2 v[14:15], v[2:3], off
	s_endpgm
	.section	.rodata,"a",@progbits
	.p2align	6, 0x0
	.amdhsa_kernel _Z21sort_key_value_kernelILj162ELj1ELb1ELb0EjxEvPT3_PT4_jj
		.amdhsa_group_segment_fixed_size 5200
		.amdhsa_private_segment_fixed_size 0
		.amdhsa_kernarg_size 24
		.amdhsa_user_sgpr_count 6
		.amdhsa_user_sgpr_private_segment_buffer 1
		.amdhsa_user_sgpr_dispatch_ptr 0
		.amdhsa_user_sgpr_queue_ptr 0
		.amdhsa_user_sgpr_kernarg_segment_ptr 1
		.amdhsa_user_sgpr_dispatch_id 0
		.amdhsa_user_sgpr_flat_scratch_init 0
		.amdhsa_user_sgpr_kernarg_preload_length 0
		.amdhsa_user_sgpr_kernarg_preload_offset 0
		.amdhsa_user_sgpr_private_segment_size 0
		.amdhsa_uses_dynamic_stack 0
		.amdhsa_system_sgpr_private_segment_wavefront_offset 0
		.amdhsa_system_sgpr_workgroup_id_x 1
		.amdhsa_system_sgpr_workgroup_id_y 0
		.amdhsa_system_sgpr_workgroup_id_z 0
		.amdhsa_system_sgpr_workgroup_info 0
		.amdhsa_system_vgpr_workitem_id 0
		.amdhsa_next_free_vgpr 32
		.amdhsa_next_free_sgpr 38
		.amdhsa_accum_offset 32
		.amdhsa_reserve_vcc 1
		.amdhsa_reserve_flat_scratch 0
		.amdhsa_float_round_mode_32 0
		.amdhsa_float_round_mode_16_64 0
		.amdhsa_float_denorm_mode_32 3
		.amdhsa_float_denorm_mode_16_64 3
		.amdhsa_dx10_clamp 1
		.amdhsa_ieee_mode 1
		.amdhsa_fp16_overflow 0
		.amdhsa_tg_split 0
		.amdhsa_exception_fp_ieee_invalid_op 0
		.amdhsa_exception_fp_denorm_src 0
		.amdhsa_exception_fp_ieee_div_zero 0
		.amdhsa_exception_fp_ieee_overflow 0
		.amdhsa_exception_fp_ieee_underflow 0
		.amdhsa_exception_fp_ieee_inexact 0
		.amdhsa_exception_int_div_zero 0
	.end_amdhsa_kernel
	.section	.text._Z21sort_key_value_kernelILj162ELj1ELb1ELb0EjxEvPT3_PT4_jj,"axG",@progbits,_Z21sort_key_value_kernelILj162ELj1ELb1ELb0EjxEvPT3_PT4_jj,comdat
.Lfunc_end44:
	.size	_Z21sort_key_value_kernelILj162ELj1ELb1ELb0EjxEvPT3_PT4_jj, .Lfunc_end44-_Z21sort_key_value_kernelILj162ELj1ELb1ELb0EjxEvPT3_PT4_jj
                                        ; -- End function
	.section	.AMDGPU.csdata,"",@progbits
; Kernel info:
; codeLenInByte = 6984
; NumSgprs: 42
; NumVgprs: 32
; NumAgprs: 0
; TotalNumVgprs: 32
; ScratchSize: 0
; MemoryBound: 0
; FloatMode: 240
; IeeeMode: 1
; LDSByteSize: 5200 bytes/workgroup (compile time only)
; SGPRBlocks: 5
; VGPRBlocks: 3
; NumSGPRsForWavesPerEU: 42
; NumVGPRsForWavesPerEU: 32
; AccumOffset: 32
; Occupancy: 8
; WaveLimiterHint : 0
; COMPUTE_PGM_RSRC2:SCRATCH_EN: 0
; COMPUTE_PGM_RSRC2:USER_SGPR: 6
; COMPUTE_PGM_RSRC2:TRAP_HANDLER: 0
; COMPUTE_PGM_RSRC2:TGID_X_EN: 1
; COMPUTE_PGM_RSRC2:TGID_Y_EN: 0
; COMPUTE_PGM_RSRC2:TGID_Z_EN: 0
; COMPUTE_PGM_RSRC2:TIDIG_COMP_CNT: 0
; COMPUTE_PGM_RSRC3_GFX90A:ACCUM_OFFSET: 7
; COMPUTE_PGM_RSRC3_GFX90A:TG_SPLIT: 0
	.section	.text._Z21sort_key_value_kernelILj510ELj1ELb0ELb1ExcEvPT3_PT4_jj,"axG",@progbits,_Z21sort_key_value_kernelILj510ELj1ELb0ELb1ExcEvPT3_PT4_jj,comdat
	.protected	_Z21sort_key_value_kernelILj510ELj1ELb0ELb1ExcEvPT3_PT4_jj ; -- Begin function _Z21sort_key_value_kernelILj510ELj1ELb0ELb1ExcEvPT3_PT4_jj
	.globl	_Z21sort_key_value_kernelILj510ELj1ELb0ELb1ExcEvPT3_PT4_jj
	.p2align	8
	.type	_Z21sort_key_value_kernelILj510ELj1ELb0ELb1ExcEvPT3_PT4_jj,@function
_Z21sort_key_value_kernelILj510ELj1ELb0ELb1ExcEvPT3_PT4_jj: ; @_Z21sort_key_value_kernelILj510ELj1ELb0ELb1ExcEvPT3_PT4_jj
; %bb.0:
	s_load_dwordx4 s[0:3], s[4:5], 0x0
	s_load_dwordx2 s[34:35], s[4:5], 0x10
	s_mul_i32 s4, s6, 0x1fe
	s_mov_b32 s5, 0
	s_lshl_b64 s[6:7], s[4:5], 3
	s_waitcnt lgkmcnt(0)
	s_add_u32 s28, s0, s6
	s_addc_u32 s29, s1, s7
	v_lshlrev_b32_e32 v16, 3, v0
	s_add_u32 s30, s2, s4
	global_load_dwordx2 v[2:3], v16, s[28:29]
	s_addc_u32 s31, s3, 0
	global_load_ubyte v23, v0, s[30:31]
	v_mbcnt_lo_u32_b32 v1, -1, 0
	v_mbcnt_hi_u32_b32 v1, -1, v1
	s_cmp_eq_u32 s34, 0
	v_and_b32_e32 v4, 0x1c0, v0
	v_add_u32_e32 v9, -1, v1
	v_and_b32_e32 v10, 64, v1
	s_cselect_b64 s[26:27], -1, 0
	s_cmp_eq_u32 s35, 64
	v_lshrrev_b32_e32 v5, 4, v0
	v_sub_u32_e32 v6, 0xdf1, v0
	v_min_u32_e32 v4, 0x1be, v4
	v_cmp_lt_i32_e32 vcc, v9, v10
	s_cselect_b64 s[36:37], -1, 0
	s_movk_i32 s8, 0xffe4
	v_lshlrev_b32_e32 v11, 5, v0
	v_and_b32_e32 v7, 15, v1
	v_and_b32_e32 v8, 16, v1
	v_cmp_lt_u32_e64 s[4:5], 31, v1
	v_cmp_eq_u32_e64 s[6:7], 0, v1
	v_and_b32_e32 v20, 28, v5
	v_and_b32_e32 v5, 7, v1
	v_mul_hi_u32_u24_e32 v6, 0x808081, v6
	v_add_u32_e32 v4, 63, v4
	v_cndmask_b32_e32 v1, v9, v1, vcc
	s_and_b64 s[26:27], s[26:27], s[36:37]
	v_cmp_gt_u32_e64 s[0:1], 8, v0
	v_cmp_lt_u32_e64 s[2:3], 63, v0
	v_lshlrev_b32_e32 v18, 2, v0
	v_mad_i32_i24 v21, v0, s8, v11
	v_cmp_eq_u32_e64 s[8:9], 0, v7
	v_cmp_lt_u32_e64 s[10:11], 1, v7
	v_cmp_lt_u32_e64 s[12:13], 3, v7
	;; [unrolled: 1-line block ×3, first 2 shown]
	v_cmp_eq_u32_e64 s[16:17], 0, v8
	v_cmp_eq_u32_e64 s[18:19], 0, v5
	v_cmp_lt_u32_e64 s[20:21], 1, v5
	v_cmp_lt_u32_e64 s[22:23], 3, v5
	v_add_u32_e32 v19, 3, v6
	v_add_u32_e32 v10, 1, v6
	v_cmp_eq_u32_e64 s[24:25], v4, v0
	v_lshlrev_b32_e32 v22, 2, v1
	v_mov_b32_e32 v24, s29
	v_mov_b32_e32 v17, s31
	s_and_b64 vcc, exec, s[26:27]
	s_waitcnt vmcnt(1)
	v_xor_b32_e32 v13, 0x7fffffff, v3
	v_not_b32_e32 v12, v2
	s_cbranch_vccnz .LBB45_18
; %bb.1:
	v_and_b32_e32 v26, 30, v19
	v_mov_b32_e32 v1, v10
	v_mov_b32_e32 v27, 0
	s_waitcnt vmcnt(0)
	v_mov_b32_e32 v6, v23
	v_pk_mov_b32 v[2:3], v[12:13], v[12:13] op_sel:[0,1]
	s_branch .LBB45_3
.LBB45_2:                               ;   in Loop: Header=BB45_3 Depth=1
	v_add_u32_e32 v2, v21, v18
	s_barrier
	ds_write_b64 v5, v[14:15]
	s_waitcnt lgkmcnt(0)
	s_barrier
	ds_read_b64 v[2:3], v2
	s_waitcnt lgkmcnt(0)
	s_barrier
	ds_write_b8 v4, v25
	s_waitcnt lgkmcnt(0)
	s_barrier
	ds_read_u8 v6, v0
	s_waitcnt lgkmcnt(0)
	s_barrier
	s_cbranch_execz .LBB45_17
.LBB45_3:                               ; =>This Loop Header: Depth=1
                                        ;     Child Loop BB45_5 Depth 2
	v_pk_mov_b32 v[14:15], v[2:3], v[2:3] op_sel:[0,1]
	v_mov_b32_e32 v25, v6
	s_mov_b64 s[36:37], 0
	v_mov_b32_e32 v2, v21
	s_mov_b32 s29, 0
	s_branch .LBB45_5
.LBB45_4:                               ;   in Loop: Header=BB45_5 Depth=2
	s_or_b64 exec, exec, s[26:27]
	s_add_i32 s29, s29, 2
	v_cmp_eq_u32_e32 vcc, s29, v26
	s_or_b64 s[36:37], vcc, s[36:37]
	v_add_u32_e32 v2, 0xff0, v2
	s_andn2_b64 exec, exec, s[36:37]
	s_cbranch_execz .LBB45_9
.LBB45_5:                               ;   Parent Loop BB45_3 Depth=1
                                        ; =>  This Inner Loop Header: Depth=2
	s_or_b32 s26, s29, 1
	v_cmp_le_u32_e32 vcc, s26, v1
	v_cmp_le_u32_e64 s[26:27], s29, v10
	s_and_saveexec_b64 s[38:39], s[26:27]
	s_cbranch_execz .LBB45_7
; %bb.6:                                ;   in Loop: Header=BB45_5 Depth=2
	ds_write_b32 v2, v27
.LBB45_7:                               ;   in Loop: Header=BB45_5 Depth=2
	s_or_b64 exec, exec, s[38:39]
	s_and_saveexec_b64 s[26:27], vcc
	s_cbranch_execz .LBB45_4
; %bb.8:                                ;   in Loop: Header=BB45_5 Depth=2
	ds_write_b32 v2, v27 offset:2040
	s_branch .LBB45_4
.LBB45_9:                               ;   in Loop: Header=BB45_3 Depth=1
	s_or_b64 exec, exec, s[36:37]
	s_sub_i32 s26, s35, s34
	s_min_u32 s26, s26, 4
	v_lshrrev_b64 v[2:3], s34, v[14:15]
	v_bfe_u32 v2, v2, 0, s26
	v_and_b32_e32 v3, 7, v2
	v_mul_u32_u24_e32 v3, 0x1fe, v3
	v_lshrrev_b32_e32 v2, 3, v2
	v_add_lshl_u32 v3, v3, v0, 1
	v_add_lshl_u32 v29, v3, v2, 1
	ds_read_u16 v28, v29
	s_waitcnt lgkmcnt(0)
	v_add_u16_e32 v2, 1, v28
	ds_write_b16 v29, v2
	s_waitcnt lgkmcnt(0)
	s_barrier
	ds_read2_b64 v[6:9], v11 offset1:1
	ds_read2_b64 v[2:5], v11 offset0:2 offset1:3
	s_waitcnt lgkmcnt(1)
	v_add_u32_e32 v30, v7, v6
	v_add3_u32 v30, v30, v8, v9
	s_waitcnt lgkmcnt(0)
	v_add3_u32 v30, v30, v2, v3
	v_add3_u32 v5, v30, v4, v5
	s_nop 1
	v_mov_b32_dpp v30, v5 row_shr:1 row_mask:0xf bank_mask:0xf
	v_cndmask_b32_e64 v30, v30, 0, s[8:9]
	v_add_u32_e32 v5, v30, v5
	s_nop 1
	v_mov_b32_dpp v30, v5 row_shr:2 row_mask:0xf bank_mask:0xf
	v_cndmask_b32_e64 v30, 0, v30, s[10:11]
	v_add_u32_e32 v5, v5, v30
	;; [unrolled: 4-line block ×4, first 2 shown]
	s_nop 1
	v_mov_b32_dpp v30, v5 row_bcast:15 row_mask:0xf bank_mask:0xf
	v_cndmask_b32_e64 v30, v30, 0, s[16:17]
	v_add_u32_e32 v5, v5, v30
	s_nop 1
	v_mov_b32_dpp v30, v5 row_bcast:31 row_mask:0xf bank_mask:0xf
	v_cndmask_b32_e64 v30, 0, v30, s[4:5]
	v_add_u32_e32 v5, v5, v30
	s_and_saveexec_b64 s[26:27], s[24:25]
	s_cbranch_execz .LBB45_11
; %bb.10:                               ;   in Loop: Header=BB45_3 Depth=1
	ds_write_b32 v20, v5 offset:16320
.LBB45_11:                              ;   in Loop: Header=BB45_3 Depth=1
	s_or_b64 exec, exec, s[26:27]
	s_waitcnt lgkmcnt(0)
	s_barrier
	s_and_saveexec_b64 s[26:27], s[0:1]
	s_cbranch_execz .LBB45_13
; %bb.12:                               ;   in Loop: Header=BB45_3 Depth=1
	ds_read_b32 v30, v21 offset:16320
	s_waitcnt lgkmcnt(0)
	s_nop 0
	v_mov_b32_dpp v31, v30 row_shr:1 row_mask:0xf bank_mask:0xf
	v_cndmask_b32_e64 v31, v31, 0, s[18:19]
	v_add_u32_e32 v30, v31, v30
	s_nop 1
	v_mov_b32_dpp v31, v30 row_shr:2 row_mask:0xf bank_mask:0xf
	v_cndmask_b32_e64 v31, 0, v31, s[20:21]
	v_add_u32_e32 v30, v30, v31
	;; [unrolled: 4-line block ×3, first 2 shown]
	ds_write_b32 v21, v30 offset:16320
.LBB45_13:                              ;   in Loop: Header=BB45_3 Depth=1
	s_or_b64 exec, exec, s[26:27]
	v_mov_b32_e32 v30, 0
	s_waitcnt lgkmcnt(0)
	s_barrier
	s_and_saveexec_b64 s[26:27], s[2:3]
	s_cbranch_execz .LBB45_15
; %bb.14:                               ;   in Loop: Header=BB45_3 Depth=1
	ds_read_b32 v30, v20 offset:16316
.LBB45_15:                              ;   in Loop: Header=BB45_3 Depth=1
	s_or_b64 exec, exec, s[26:27]
	s_waitcnt lgkmcnt(0)
	v_add_u32_e32 v5, v30, v5
	ds_bpermute_b32 v5, v22, v5
	ds_read_b32 v31, v27 offset:16348
	s_add_i32 s34, s34, 4
	s_cmp_ge_u32 s34, s35
	s_waitcnt lgkmcnt(1)
	v_cndmask_b32_e64 v5, v5, v30, s[6:7]
	s_waitcnt lgkmcnt(0)
	v_lshl_add_u32 v30, v31, 16, v5
	v_add_u32_e32 v31, v30, v6
	v_add_u32_e32 v6, v31, v7
	;; [unrolled: 1-line block ×7, first 2 shown]
	ds_write2_b64 v11, v[30:31], v[6:7] offset1:1
	ds_write2_b64 v11, v[8:9], v[2:3] offset0:2 offset1:3
	s_waitcnt lgkmcnt(0)
	s_barrier
	ds_read_u16 v2, v29
	s_waitcnt lgkmcnt(0)
	v_add_u32_sdwa v4, v2, v28 dst_sel:DWORD dst_unused:UNUSED_PAD src0_sel:DWORD src1_sel:WORD_0
	v_lshlrev_b32_e32 v5, 3, v4
	s_cbranch_scc0 .LBB45_2
; %bb.16:
                                        ; implicit-def: $vgpr2_vgpr3
                                        ; implicit-def: $vgpr6
.LBB45_17:
	v_add_u32_e32 v1, v21, v18
	s_barrier
	ds_write_b64 v5, v[14:15]
	s_waitcnt lgkmcnt(0)
	s_barrier
	ds_read_b64 v[2:3], v1
	s_waitcnt lgkmcnt(0)
	s_barrier
	ds_write_b8 v4, v25
	s_waitcnt lgkmcnt(0)
	s_barrier
	s_mov_b64 s[26:27], 0
	s_branch .LBB45_19
.LBB45_18:
	s_mov_b64 s[26:27], -1
                                        ; implicit-def: $vgpr2_vgpr3
.LBB45_19:
	v_add_co_u32_e32 v14, vcc, s28, v16
	v_addc_co_u32_e32 v15, vcc, 0, v24, vcc
	v_add_co_u32_e32 v16, vcc, s30, v0
	v_addc_co_u32_e32 v17, vcc, 0, v17, vcc
	s_and_b64 vcc, exec, s[26:27]
	s_cbranch_vccz .LBB45_37
; %bb.20:
	v_and_b32_e32 v25, 30, v19
	v_mov_b32_e32 v1, v10
	s_mov_b32 s34, 0
	v_mov_b32_e32 v27, 0
	s_movk_i32 s33, 0x1fe
	v_add_u32_e32 v24, v21, v18
	s_branch .LBB45_22
.LBB45_21:                              ;   in Loop: Header=BB45_22 Depth=1
	v_lshlrev_b32_e32 v2, 3, v4
	s_barrier
	ds_write_b64 v2, v[18:19]
	s_waitcnt lgkmcnt(0)
	s_barrier
	ds_read_b64 v[12:13], v24
	s_waitcnt lgkmcnt(0)
	s_barrier
	ds_write_b8 v4, v26
	s_waitcnt lgkmcnt(0)
	s_barrier
	ds_read_u8 v23, v0
	s_add_i32 s34, s34, 4
	s_waitcnt lgkmcnt(0)
	s_barrier
	s_cbranch_execz .LBB45_36
.LBB45_22:                              ; =>This Loop Header: Depth=1
                                        ;     Child Loop BB45_24 Depth 2
	v_pk_mov_b32 v[18:19], v[12:13], v[12:13] op_sel:[0,1]
	s_waitcnt vmcnt(0)
	v_mov_b32_e32 v26, v23
	s_mov_b64 s[28:29], 0
	v_mov_b32_e32 v2, v21
	s_mov_b32 s35, 0
	s_branch .LBB45_24
.LBB45_23:                              ;   in Loop: Header=BB45_24 Depth=2
	s_or_b64 exec, exec, s[26:27]
	s_add_i32 s35, s35, 2
	v_cmp_eq_u32_e32 vcc, s35, v25
	s_or_b64 s[28:29], vcc, s[28:29]
	v_add_u32_e32 v2, 0xff0, v2
	s_andn2_b64 exec, exec, s[28:29]
	s_cbranch_execz .LBB45_28
.LBB45_24:                              ;   Parent Loop BB45_22 Depth=1
                                        ; =>  This Inner Loop Header: Depth=2
	s_or_b32 s26, s35, 1
	v_cmp_le_u32_e32 vcc, s26, v1
	v_cmp_le_u32_e64 s[26:27], s35, v10
	s_and_saveexec_b64 s[30:31], s[26:27]
	s_cbranch_execz .LBB45_26
; %bb.25:                               ;   in Loop: Header=BB45_24 Depth=2
	ds_write_b32 v2, v27
.LBB45_26:                              ;   in Loop: Header=BB45_24 Depth=2
	s_or_b64 exec, exec, s[30:31]
	s_and_saveexec_b64 s[26:27], vcc
	s_cbranch_execz .LBB45_23
; %bb.27:                               ;   in Loop: Header=BB45_24 Depth=2
	ds_write_b32 v2, v27 offset:2040
	s_branch .LBB45_23
.LBB45_28:                              ;   in Loop: Header=BB45_22 Depth=1
	s_or_b64 exec, exec, s[28:29]
	v_lshrrev_b64 v[2:3], s34, v[18:19]
	v_and_b32_e32 v3, 7, v2
	v_lshrrev_b32_e32 v2, 2, v2
	v_mad_u32_u24 v3, v3, s33, v0
	v_and_b32_e32 v2, 2, v2
	v_lshl_or_b32 v13, v3, 2, v2
	ds_read_u16 v12, v13
	s_waitcnt lgkmcnt(0)
	v_add_u16_e32 v2, 1, v12
	ds_write_b16 v13, v2
	s_waitcnt lgkmcnt(0)
	s_barrier
	ds_read2_b64 v[6:9], v11 offset1:1
	ds_read2_b64 v[2:5], v11 offset0:2 offset1:3
	s_waitcnt lgkmcnt(1)
	v_add_u32_e32 v23, v7, v6
	v_add3_u32 v23, v23, v8, v9
	s_waitcnt lgkmcnt(0)
	v_add3_u32 v23, v23, v2, v3
	v_add3_u32 v5, v23, v4, v5
	s_nop 1
	v_mov_b32_dpp v23, v5 row_shr:1 row_mask:0xf bank_mask:0xf
	v_cndmask_b32_e64 v23, v23, 0, s[8:9]
	v_add_u32_e32 v5, v23, v5
	s_nop 1
	v_mov_b32_dpp v23, v5 row_shr:2 row_mask:0xf bank_mask:0xf
	v_cndmask_b32_e64 v23, 0, v23, s[10:11]
	v_add_u32_e32 v5, v5, v23
	s_nop 1
	v_mov_b32_dpp v23, v5 row_shr:4 row_mask:0xf bank_mask:0xf
	v_cndmask_b32_e64 v23, 0, v23, s[12:13]
	v_add_u32_e32 v5, v5, v23
	s_nop 1
	v_mov_b32_dpp v23, v5 row_shr:8 row_mask:0xf bank_mask:0xf
	v_cndmask_b32_e64 v23, 0, v23, s[14:15]
	v_add_u32_e32 v5, v5, v23
	s_nop 1
	v_mov_b32_dpp v23, v5 row_bcast:15 row_mask:0xf bank_mask:0xf
	v_cndmask_b32_e64 v23, v23, 0, s[16:17]
	v_add_u32_e32 v5, v5, v23
	s_nop 1
	v_mov_b32_dpp v23, v5 row_bcast:31 row_mask:0xf bank_mask:0xf
	v_cndmask_b32_e64 v23, 0, v23, s[4:5]
	v_add_u32_e32 v5, v5, v23
	s_and_saveexec_b64 s[26:27], s[24:25]
	s_cbranch_execz .LBB45_30
; %bb.29:                               ;   in Loop: Header=BB45_22 Depth=1
	ds_write_b32 v20, v5 offset:16320
.LBB45_30:                              ;   in Loop: Header=BB45_22 Depth=1
	s_or_b64 exec, exec, s[26:27]
	s_waitcnt lgkmcnt(0)
	s_barrier
	s_and_saveexec_b64 s[26:27], s[0:1]
	s_cbranch_execz .LBB45_32
; %bb.31:                               ;   in Loop: Header=BB45_22 Depth=1
	ds_read_b32 v23, v21 offset:16320
	s_waitcnt lgkmcnt(0)
	s_nop 0
	v_mov_b32_dpp v28, v23 row_shr:1 row_mask:0xf bank_mask:0xf
	v_cndmask_b32_e64 v28, v28, 0, s[18:19]
	v_add_u32_e32 v23, v28, v23
	s_nop 1
	v_mov_b32_dpp v28, v23 row_shr:2 row_mask:0xf bank_mask:0xf
	v_cndmask_b32_e64 v28, 0, v28, s[20:21]
	v_add_u32_e32 v23, v23, v28
	;; [unrolled: 4-line block ×3, first 2 shown]
	ds_write_b32 v21, v23 offset:16320
.LBB45_32:                              ;   in Loop: Header=BB45_22 Depth=1
	s_or_b64 exec, exec, s[26:27]
	v_mov_b32_e32 v23, 0
	s_waitcnt lgkmcnt(0)
	s_barrier
	s_and_saveexec_b64 s[26:27], s[2:3]
	s_cbranch_execz .LBB45_34
; %bb.33:                               ;   in Loop: Header=BB45_22 Depth=1
	ds_read_b32 v23, v20 offset:16316
.LBB45_34:                              ;   in Loop: Header=BB45_22 Depth=1
	s_or_b64 exec, exec, s[26:27]
	s_waitcnt lgkmcnt(0)
	v_add_u32_e32 v5, v23, v5
	ds_bpermute_b32 v5, v22, v5
	ds_read_b32 v28, v27 offset:16348
	s_cmp_gt_u32 s34, 59
	s_waitcnt lgkmcnt(1)
	v_cndmask_b32_e64 v5, v5, v23, s[6:7]
	s_waitcnt lgkmcnt(0)
	v_lshl_add_u32 v28, v28, 16, v5
	v_add_u32_e32 v29, v28, v6
	v_add_u32_e32 v6, v29, v7
	v_add_u32_e32 v7, v6, v8
	v_add_u32_e32 v8, v7, v9
	v_add_u32_e32 v9, v8, v2
	v_add_u32_e32 v2, v9, v3
	v_add_u32_e32 v3, v2, v4
	ds_write2_b64 v11, v[28:29], v[6:7] offset1:1
	ds_write2_b64 v11, v[8:9], v[2:3] offset0:2 offset1:3
	s_waitcnt lgkmcnt(0)
	s_barrier
	ds_read_u16 v2, v13
	s_waitcnt lgkmcnt(0)
	v_add_u32_sdwa v4, v2, v12 dst_sel:DWORD dst_unused:UNUSED_PAD src0_sel:DWORD src1_sel:WORD_0
	s_cbranch_scc0 .LBB45_21
; %bb.35:
                                        ; implicit-def: $sgpr34
                                        ; implicit-def: $vgpr12_vgpr13
                                        ; implicit-def: $vgpr23
.LBB45_36:
	v_lshlrev_b32_e32 v1, 3, v4
	s_barrier
	ds_write_b64 v1, v[18:19]
	s_waitcnt lgkmcnt(0)
	s_barrier
	ds_read_b64 v[2:3], v24
	s_waitcnt lgkmcnt(0)
	s_barrier
	ds_write_b8 v4, v26
	s_waitcnt lgkmcnt(0)
	s_barrier
.LBB45_37:
	ds_read_u8 v4, v0
	v_xor_b32_e32 v1, 0x7fffffff, v3
	v_not_b32_e32 v0, v2
	global_store_dwordx2 v[14:15], v[0:1], off
	s_waitcnt lgkmcnt(0)
	global_store_byte v[16:17], v4, off
	s_endpgm
	.section	.rodata,"a",@progbits
	.p2align	6, 0x0
	.amdhsa_kernel _Z21sort_key_value_kernelILj510ELj1ELb0ELb1ExcEvPT3_PT4_jj
		.amdhsa_group_segment_fixed_size 16352
		.amdhsa_private_segment_fixed_size 0
		.amdhsa_kernarg_size 24
		.amdhsa_user_sgpr_count 6
		.amdhsa_user_sgpr_private_segment_buffer 1
		.amdhsa_user_sgpr_dispatch_ptr 0
		.amdhsa_user_sgpr_queue_ptr 0
		.amdhsa_user_sgpr_kernarg_segment_ptr 1
		.amdhsa_user_sgpr_dispatch_id 0
		.amdhsa_user_sgpr_flat_scratch_init 0
		.amdhsa_user_sgpr_kernarg_preload_length 0
		.amdhsa_user_sgpr_kernarg_preload_offset 0
		.amdhsa_user_sgpr_private_segment_size 0
		.amdhsa_uses_dynamic_stack 0
		.amdhsa_system_sgpr_private_segment_wavefront_offset 0
		.amdhsa_system_sgpr_workgroup_id_x 1
		.amdhsa_system_sgpr_workgroup_id_y 0
		.amdhsa_system_sgpr_workgroup_id_z 0
		.amdhsa_system_sgpr_workgroup_info 0
		.amdhsa_system_vgpr_workitem_id 0
		.amdhsa_next_free_vgpr 32
		.amdhsa_next_free_sgpr 40
		.amdhsa_accum_offset 32
		.amdhsa_reserve_vcc 1
		.amdhsa_reserve_flat_scratch 0
		.amdhsa_float_round_mode_32 0
		.amdhsa_float_round_mode_16_64 0
		.amdhsa_float_denorm_mode_32 3
		.amdhsa_float_denorm_mode_16_64 3
		.amdhsa_dx10_clamp 1
		.amdhsa_ieee_mode 1
		.amdhsa_fp16_overflow 0
		.amdhsa_tg_split 0
		.amdhsa_exception_fp_ieee_invalid_op 0
		.amdhsa_exception_fp_denorm_src 0
		.amdhsa_exception_fp_ieee_div_zero 0
		.amdhsa_exception_fp_ieee_overflow 0
		.amdhsa_exception_fp_ieee_underflow 0
		.amdhsa_exception_fp_ieee_inexact 0
		.amdhsa_exception_int_div_zero 0
	.end_amdhsa_kernel
	.section	.text._Z21sort_key_value_kernelILj510ELj1ELb0ELb1ExcEvPT3_PT4_jj,"axG",@progbits,_Z21sort_key_value_kernelILj510ELj1ELb0ELb1ExcEvPT3_PT4_jj,comdat
.Lfunc_end45:
	.size	_Z21sort_key_value_kernelILj510ELj1ELb0ELb1ExcEvPT3_PT4_jj, .Lfunc_end45-_Z21sort_key_value_kernelILj510ELj1ELb0ELb1ExcEvPT3_PT4_jj
                                        ; -- End function
	.section	.AMDGPU.csdata,"",@progbits
; Kernel info:
; codeLenInByte = 2140
; NumSgprs: 44
; NumVgprs: 32
; NumAgprs: 0
; TotalNumVgprs: 32
; ScratchSize: 0
; MemoryBound: 0
; FloatMode: 240
; IeeeMode: 1
; LDSByteSize: 16352 bytes/workgroup (compile time only)
; SGPRBlocks: 5
; VGPRBlocks: 3
; NumSGPRsForWavesPerEU: 44
; NumVGPRsForWavesPerEU: 32
; AccumOffset: 32
; Occupancy: 8
; WaveLimiterHint : 0
; COMPUTE_PGM_RSRC2:SCRATCH_EN: 0
; COMPUTE_PGM_RSRC2:USER_SGPR: 6
; COMPUTE_PGM_RSRC2:TRAP_HANDLER: 0
; COMPUTE_PGM_RSRC2:TGID_X_EN: 1
; COMPUTE_PGM_RSRC2:TGID_Y_EN: 0
; COMPUTE_PGM_RSRC2:TGID_Z_EN: 0
; COMPUTE_PGM_RSRC2:TIDIG_COMP_CNT: 0
; COMPUTE_PGM_RSRC3_GFX90A:ACCUM_OFFSET: 7
; COMPUTE_PGM_RSRC3_GFX90A:TG_SPLIT: 0
	.section	.text._Z21sort_key_value_kernelILj37ELj1ELb0ELb0E6__halfiEvPT3_PT4_jj,"axG",@progbits,_Z21sort_key_value_kernelILj37ELj1ELb0ELb0E6__halfiEvPT3_PT4_jj,comdat
	.protected	_Z21sort_key_value_kernelILj37ELj1ELb0ELb0E6__halfiEvPT3_PT4_jj ; -- Begin function _Z21sort_key_value_kernelILj37ELj1ELb0ELb0E6__halfiEvPT3_PT4_jj
	.globl	_Z21sort_key_value_kernelILj37ELj1ELb0ELb0E6__halfiEvPT3_PT4_jj
	.p2align	8
	.type	_Z21sort_key_value_kernelILj37ELj1ELb0ELb0E6__halfiEvPT3_PT4_jj,@function
_Z21sort_key_value_kernelILj37ELj1ELb0ELb0E6__halfiEvPT3_PT4_jj: ; @_Z21sort_key_value_kernelILj37ELj1ELb0ELb0E6__halfiEvPT3_PT4_jj
; %bb.0:
	s_load_dwordx4 s[0:3], s[4:5], 0x0
	s_load_dwordx2 s[28:29], s[4:5], 0x10
	s_mul_i32 s4, s6, 37
	s_mov_b32 s5, 0
	s_lshl_b64 s[6:7], s[4:5], 1
	s_waitcnt lgkmcnt(0)
	s_add_u32 s24, s0, s6
	s_addc_u32 s25, s1, s7
	v_lshlrev_b32_e32 v11, 1, v0
	global_load_ushort v1, v11, s[24:25]
	s_lshl_b64 s[0:1], s[4:5], 2
	s_add_u32 s26, s2, s0
	s_addc_u32 s27, s3, s1
	v_lshlrev_b32_e32 v13, 2, v0
	global_load_dword v19, v13, s[26:27]
	v_mbcnt_lo_u32_b32 v2, -1, 0
	s_cmp_eq_u32 s28, 0
	v_mbcnt_hi_u32_b32 v2, -1, v2
	s_cselect_b64 s[18:19], -1, 0
	s_cmp_eq_u32 s29, 16
	v_add_u32_e32 v5, -1, v2
	v_and_b32_e32 v6, 64, v2
	s_cselect_b64 s[20:21], -1, 0
	s_movk_i32 s0, 0x128
	v_cmp_lt_i32_e32 vcc, v5, v6
	s_and_b64 s[18:19], s[18:19], s[20:21]
	v_mov_b32_e32 v21, 0xffff8000
	s_movk_i32 s6, 0xffe2
	v_cmp_gt_u32_e64 s[16:17], s0, v0
	v_lshlrev_b32_e32 v16, 5, v0
	v_and_b32_e32 v3, 15, v2
	v_and_b32_e32 v4, 16, v2
	v_cmp_lt_u32_e64 s[4:5], 31, v2
	v_cmp_eq_u32_e64 s[0:1], 0, v2
	v_cndmask_b32_e32 v2, v5, v2, vcc
	s_and_b64 vcc, exec, s[18:19]
	v_mad_i32_i24 v15, v0, s6, v16
	v_lshlrev_b32_e32 v17, 2, v2
	v_cmp_eq_u32_e64 s[2:3], 36, v0
	v_mul_i32_i24_e32 v18, 0xffffffe2, v0
	v_cmp_eq_u32_e64 s[14:15], 0, v3
	v_cmp_lt_u32_e64 s[12:13], 1, v3
	v_cmp_lt_u32_e64 s[10:11], 3, v3
	;; [unrolled: 1-line block ×3, first 2 shown]
	v_cmp_eq_u32_e64 s[6:7], 0, v4
	v_add_u32_e32 v14, v15, v11
	v_mov_b32_e32 v23, s25
	v_mov_b32_e32 v22, s27
	s_waitcnt vmcnt(1)
	v_cmp_lt_i16_e64 s[18:19], -1, v1
	v_cndmask_b32_e64 v2, -1, v21, s[18:19]
	v_xor_b32_e32 v20, v2, v1
	s_cbranch_vccnz .LBB46_36
; %bb.1:
	s_movk_i32 s18, 0x103
	v_bfrev_b32_e32 v2, -4.0
	v_cmp_gt_u32_e32 vcc, s18, v0
	v_subb_co_u32_e64 v2, s[18:19], v2, v0, vcc
	s_mov_b32 s18, 0xbacf914d
	v_sub_u32_e32 v1, 0x103, v0
	v_mul_hi_u32 v2, v2, s18
	v_subb_co_u32_e64 v1, s[18:19], v1, v2, vcc
	v_lshrrev_b32_e32 v1, 1, v1
	v_add_u32_e32 v1, v1, v2
	v_lshrrev_b32_e32 v1, 5, v1
	v_addc_co_u32_e32 v10, vcc, 0, v1, vcc
	v_lshrrev_b32_e32 v1, 1, v10
	v_add_u32_e32 v2, 1, v1
	v_and_b32_e32 v3, 3, v2
	v_and_b32_e32 v24, 0xffffffc, v2
	v_mov_b32_e32 v2, 0x128
	v_mov_b32_e32 v1, v10
	v_cmp_lt_u32_e64 s[18:19], 5, v10
	v_cmp_ne_u32_e64 s[20:21], 0, v3
	v_lshl_add_u32 v25, v0, 2, v2
	v_mad_u32_u24 v12, v0, 34, v18
	s_movk_i32 s25, 0x94
	v_mul_u32_u24_e32 v27, 0x94, v3
	v_mov_b32_e32 v28, 0
	s_movk_i32 s27, 0x7fff
	s_waitcnt vmcnt(0)
	v_mov_b32_e32 v4, v19
	v_mov_b32_e32 v3, v20
	s_branch .LBB46_3
.LBB46_2:                               ;   in Loop: Header=BB46_3 Depth=1
	v_add_u32_e32 v4, v2, v2
	; wave barrier
	ds_write_b16 v2, v29
	s_waitcnt lgkmcnt(0)
	; wave barrier
	s_waitcnt lgkmcnt(0)
	ds_read_u16 v3, v15
	s_waitcnt lgkmcnt(0)
	; wave barrier
	s_waitcnt lgkmcnt(0)
	ds_write_b32 v4, v26
	s_waitcnt lgkmcnt(0)
	; wave barrier
	s_waitcnt lgkmcnt(0)
	ds_read_b32 v4, v14
	s_waitcnt lgkmcnt(0)
	; wave barrier
	s_waitcnt lgkmcnt(0)
	s_cbranch_execz .LBB46_35
.LBB46_3:                               ; =>This Loop Header: Depth=1
                                        ;     Child Loop BB46_7 Depth 2
                                        ;     Child Loop BB46_27 Depth 2
	v_mov_b32_e32 v29, v3
	v_mov_b32_e32 v26, v4
	s_and_saveexec_b64 s[30:31], s[16:17]
	s_cbranch_execz .LBB46_31
; %bb.4:                                ;   in Loop: Header=BB46_3 Depth=1
	v_mov_b32_e32 v5, 0
	s_and_saveexec_b64 s[34:35], s[18:19]
	s_cbranch_execz .LBB46_24
; %bb.5:                                ;   in Loop: Header=BB46_3 Depth=1
	s_mov_b32 s33, 0
	s_mov_b64 s[36:37], 0
	v_mov_b32_e32 v2, v24
	v_mov_b32_e32 v3, v25
	;; [unrolled: 1-line block ×3, first 2 shown]
	s_branch .LBB46_7
.LBB46_6:                               ;   in Loop: Header=BB46_7 Depth=2
	s_or_b64 exec, exec, s[22:23]
	v_add_u32_e32 v2, -4, v2
	s_add_i32 s22, s33, 8
	v_cmp_eq_u32_e32 vcc, 0, v2
	s_add_i32 s33, s40, 2
	v_add_u32_e32 v4, 0x4a0, v4
	v_add_u32_e32 v3, 0x4a0, v3
	s_or_b64 s[36:37], vcc, s[36:37]
	v_mov_b32_e32 v5, s22
	s_andn2_b64 exec, exec, s[36:37]
	s_cbranch_execz .LBB46_23
.LBB46_7:                               ;   Parent Loop BB46_3 Depth=1
                                        ; =>  This Inner Loop Header: Depth=2
	s_or_b32 s22, s33, 1
	v_cmp_le_u32_e32 vcc, s22, v1
	v_cmp_le_u32_e64 s[22:23], s33, v10
	s_and_saveexec_b64 s[38:39], s[22:23]
	s_cbranch_execz .LBB46_9
; %bb.8:                                ;   in Loop: Header=BB46_7 Depth=2
	ds_write_b32 v4, v28
.LBB46_9:                               ;   in Loop: Header=BB46_7 Depth=2
	s_or_b64 exec, exec, s[38:39]
	s_and_saveexec_b64 s[22:23], vcc
	s_cbranch_execz .LBB46_11
; %bb.10:                               ;   in Loop: Header=BB46_7 Depth=2
	ds_write_b32 v4, v28 offset:148
.LBB46_11:                              ;   in Loop: Header=BB46_7 Depth=2
	s_or_b64 exec, exec, s[22:23]
	s_add_i32 s40, s33, 2
	s_add_i32 s22, s33, 3
	v_cmp_le_u32_e32 vcc, s22, v1
	v_cmp_le_u32_e64 s[22:23], s40, v10
	s_and_saveexec_b64 s[38:39], s[22:23]
	s_cbranch_execz .LBB46_13
; %bb.12:                               ;   in Loop: Header=BB46_7 Depth=2
	ds_write_b32 v3, v28
.LBB46_13:                              ;   in Loop: Header=BB46_7 Depth=2
	s_or_b64 exec, exec, s[38:39]
	s_and_saveexec_b64 s[22:23], vcc
	s_cbranch_execz .LBB46_15
; %bb.14:                               ;   in Loop: Header=BB46_7 Depth=2
	ds_write_b32 v3, v28 offset:148
.LBB46_15:                              ;   in Loop: Header=BB46_7 Depth=2
	s_or_b64 exec, exec, s[22:23]
	s_add_i32 s41, s40, 2
	s_add_i32 s40, s40, 3
	v_cmp_le_u32_e32 vcc, s40, v1
	v_cmp_le_u32_e64 s[22:23], s41, v10
	s_and_saveexec_b64 s[38:39], s[22:23]
	s_cbranch_execz .LBB46_17
; %bb.16:                               ;   in Loop: Header=BB46_7 Depth=2
	ds_write_b32 v3, v28 offset:296
.LBB46_17:                              ;   in Loop: Header=BB46_7 Depth=2
	s_or_b64 exec, exec, s[38:39]
	s_and_saveexec_b64 s[22:23], vcc
	s_cbranch_execz .LBB46_19
; %bb.18:                               ;   in Loop: Header=BB46_7 Depth=2
	ds_write_b32 v3, v28 offset:444
.LBB46_19:                              ;   in Loop: Header=BB46_7 Depth=2
	s_or_b64 exec, exec, s[22:23]
	s_add_i32 s40, s41, 2
	s_add_i32 s41, s41, 3
	v_cmp_le_u32_e32 vcc, s41, v1
	v_cmp_le_u32_e64 s[22:23], s40, v10
	s_and_saveexec_b64 s[38:39], s[22:23]
	s_cbranch_execz .LBB46_21
; %bb.20:                               ;   in Loop: Header=BB46_7 Depth=2
	ds_write_b32 v3, v28 offset:592
.LBB46_21:                              ;   in Loop: Header=BB46_7 Depth=2
	s_or_b64 exec, exec, s[38:39]
	s_and_saveexec_b64 s[22:23], vcc
	s_cbranch_execz .LBB46_6
; %bb.22:                               ;   in Loop: Header=BB46_7 Depth=2
	ds_write_b32 v3, v28 offset:740
	s_branch .LBB46_6
.LBB46_23:                              ;   in Loop: Header=BB46_3 Depth=1
	s_or_b64 exec, exec, s[36:37]
.LBB46_24:                              ;   in Loop: Header=BB46_3 Depth=1
	s_or_b64 exec, exec, s[34:35]
	s_and_b64 exec, exec, s[20:21]
	s_cbranch_execz .LBB46_31
; %bb.25:                               ;   in Loop: Header=BB46_3 Depth=1
	v_mad_u64_u32 v[2:3], s[22:23], v5, s25, v[12:13]
	s_mov_b64 s[34:35], 0
	v_mov_b32_e32 v3, v27
	s_branch .LBB46_27
.LBB46_26:                              ;   in Loop: Header=BB46_27 Depth=2
	s_or_b64 exec, exec, s[22:23]
	v_add_u32_e32 v3, 0xffffff6c, v3
	v_cmp_eq_u32_e32 vcc, 0, v3
	v_add_u32_e32 v5, 2, v5
	s_or_b64 s[34:35], vcc, s[34:35]
	v_add_u32_e32 v2, 0x128, v2
	s_andn2_b64 exec, exec, s[34:35]
	s_cbranch_execz .LBB46_31
.LBB46_27:                              ;   Parent Loop BB46_3 Depth=1
                                        ; =>  This Inner Loop Header: Depth=2
	v_or_b32_e32 v4, 1, v5
	v_cmp_le_u32_e32 vcc, v4, v1
	v_cmp_le_u32_e64 s[22:23], v5, v10
	s_and_saveexec_b64 s[36:37], s[22:23]
	s_cbranch_execz .LBB46_29
; %bb.28:                               ;   in Loop: Header=BB46_27 Depth=2
	ds_write_b32 v2, v28
.LBB46_29:                              ;   in Loop: Header=BB46_27 Depth=2
	s_or_b64 exec, exec, s[36:37]
	s_and_saveexec_b64 s[22:23], vcc
	s_cbranch_execz .LBB46_26
; %bb.30:                               ;   in Loop: Header=BB46_27 Depth=2
	ds_write_b32 v2, v28 offset:148
	s_branch .LBB46_26
.LBB46_31:                              ;   in Loop: Header=BB46_3 Depth=1
	s_or_b64 exec, exec, s[30:31]
	v_cmp_ne_u16_e32 vcc, s27, v29
	s_sub_i32 s22, s29, s28
	v_cndmask_b32_e32 v2, v21, v29, vcc
	s_min_u32 s22, s22, 4
	v_lshrrev_b32_sdwa v2, s28, v2 dst_sel:DWORD dst_unused:UNUSED_PAD src0_sel:DWORD src1_sel:WORD_0
	v_bfe_u32 v2, v2, 0, s22
	v_and_b32_e32 v3, 7, v2
	v_mul_u32_u24_e32 v3, 37, v3
	v_lshrrev_b32_e32 v2, 3, v2
	v_add_lshl_u32 v3, v3, v0, 1
	v_add_lshl_u32 v30, v3, v2, 1
	ds_read_u16 v31, v30
	s_waitcnt lgkmcnt(0)
	v_add_u16_e32 v2, 1, v31
	ds_write_b16 v30, v2
	s_waitcnt lgkmcnt(0)
	; wave barrier
	s_waitcnt lgkmcnt(0)
	ds_read2_b64 v[6:9], v16 offset1:1
	ds_read2_b64 v[2:5], v16 offset0:2 offset1:3
	s_waitcnt lgkmcnt(1)
	v_add_u32_e32 v32, v7, v6
	v_add3_u32 v32, v32, v8, v9
	s_waitcnt lgkmcnt(0)
	v_add3_u32 v32, v32, v2, v3
	v_add3_u32 v5, v32, v4, v5
	s_nop 1
	v_mov_b32_dpp v32, v5 row_shr:1 row_mask:0xf bank_mask:0xf
	v_cndmask_b32_e64 v32, v32, 0, s[14:15]
	v_add_u32_e32 v5, v32, v5
	s_nop 1
	v_mov_b32_dpp v32, v5 row_shr:2 row_mask:0xf bank_mask:0xf
	v_cndmask_b32_e64 v32, 0, v32, s[12:13]
	v_add_u32_e32 v5, v5, v32
	;; [unrolled: 4-line block ×4, first 2 shown]
	s_nop 1
	v_mov_b32_dpp v32, v5 row_bcast:15 row_mask:0xf bank_mask:0xf
	v_cndmask_b32_e64 v32, v32, 0, s[6:7]
	v_add_u32_e32 v5, v5, v32
	s_nop 1
	v_mov_b32_dpp v32, v5 row_bcast:31 row_mask:0xf bank_mask:0xf
	v_cndmask_b32_e64 v32, 0, v32, s[4:5]
	v_add_u32_e32 v5, v5, v32
	s_and_saveexec_b64 s[22:23], s[2:3]
	s_cbranch_execz .LBB46_33
; %bb.32:                               ;   in Loop: Header=BB46_3 Depth=1
	ds_write_b32 v28, v5 offset:1184
.LBB46_33:                              ;   in Loop: Header=BB46_3 Depth=1
	s_or_b64 exec, exec, s[22:23]
	ds_bpermute_b32 v5, v17, v5
	s_waitcnt lgkmcnt(0)
	; wave barrier
	s_waitcnt lgkmcnt(0)
	ds_read_b32 v32, v28 offset:1184
	s_add_i32 s28, s28, 4
	v_cndmask_b32_e64 v5, v5, 0, s[0:1]
	s_cmp_ge_u32 s28, s29
	s_waitcnt lgkmcnt(0)
	v_lshl_add_u32 v32, v32, 16, v5
	v_add_u32_e32 v33, v32, v6
	v_add_u32_e32 v6, v33, v7
	;; [unrolled: 1-line block ×7, first 2 shown]
	ds_write2_b64 v16, v[32:33], v[6:7] offset1:1
	ds_write2_b64 v16, v[8:9], v[2:3] offset0:2 offset1:3
	s_waitcnt lgkmcnt(0)
	; wave barrier
	s_waitcnt lgkmcnt(0)
	ds_read_u16 v2, v30
	v_and_b32_e32 v3, 0xffff, v31
	s_waitcnt lgkmcnt(0)
	v_add_lshl_u32 v2, v2, v3, 1
	s_cbranch_scc0 .LBB46_2
; %bb.34:
                                        ; implicit-def: $vgpr3
                                        ; implicit-def: $vgpr4
.LBB46_35:
	; wave barrier
	ds_write_b16 v2, v29
	s_waitcnt lgkmcnt(0)
	; wave barrier
	s_waitcnt lgkmcnt(0)
	ds_read_u16 v1, v15
	v_add_u32_e32 v2, v2, v2
	s_mov_b64 s[18:19], 0
	s_waitcnt lgkmcnt(0)
	; wave barrier
	s_waitcnt lgkmcnt(0)
	ds_write_b32 v2, v26
	s_waitcnt lgkmcnt(0)
	; wave barrier
	s_branch .LBB46_37
.LBB46_36:
	s_mov_b64 s[18:19], -1
                                        ; implicit-def: $vgpr1
.LBB46_37:
	v_add_co_u32_e32 v10, vcc, s24, v11
	v_addc_co_u32_e32 v11, vcc, 0, v23, vcc
	v_add_co_u32_e32 v12, vcc, s26, v13
	v_addc_co_u32_e32 v13, vcc, 0, v22, vcc
	s_and_b64 vcc, exec, s[18:19]
	s_cbranch_vccz .LBB46_159
; %bb.38:
	s_and_saveexec_b64 s[20:21], s[16:17]
	s_cbranch_execz .LBB46_66
; %bb.39:
	s_movk_i32 s18, 0x103
	v_bfrev_b32_e32 v2, -4.0
	v_cmp_gt_u32_e32 vcc, s18, v0
	v_subb_co_u32_e64 v2, s[18:19], v2, v0, vcc
	s_mov_b32 s18, 0xbacf914d
	v_sub_u32_e32 v1, 0x103, v0
	v_mul_hi_u32 v2, v2, s18
	v_subb_co_u32_e64 v1, s[18:19], v1, v2, vcc
	v_lshrrev_b32_e32 v1, 1, v1
	v_add_u32_e32 v1, v1, v2
	v_lshrrev_b32_e32 v1, 5, v1
	v_addc_co_u32_e32 v1, vcc, 0, v1, vcc
	v_lshrrev_b32_e32 v2, 1, v1
	s_mov_b32 s28, 0
	v_mov_b32_e32 v7, 0
	v_add_u32_e32 v2, 1, v2
	v_cmp_lt_u32_e32 vcc, 5, v1
	s_and_saveexec_b64 s[22:23], vcc
	s_cbranch_execz .LBB46_59
; %bb.40:
	v_mov_b32_e32 v4, 0x128
	v_and_b32_e32 v3, 0xffffffc, v2
	v_lshl_add_u32 v4, v0, 2, v4
	s_mov_b64 s[24:25], 0
	v_mov_b32_e32 v5, 0
	v_mov_b32_e32 v6, v14
	s_branch .LBB46_42
.LBB46_41:                              ;   in Loop: Header=BB46_42 Depth=1
	s_or_b64 exec, exec, s[18:19]
	v_add_u32_e32 v3, -4, v3
	s_add_i32 s18, s28, 8
	v_cmp_eq_u32_e32 vcc, 0, v3
	s_add_i32 s28, s29, 2
	v_add_u32_e32 v6, 0x4a0, v6
	v_add_u32_e32 v4, 0x4a0, v4
	s_or_b64 s[24:25], vcc, s[24:25]
	v_mov_b32_e32 v7, s18
	s_andn2_b64 exec, exec, s[24:25]
	s_cbranch_execz .LBB46_58
.LBB46_42:                              ; =>This Inner Loop Header: Depth=1
	s_or_b32 s18, s28, 1
	v_cmp_le_u32_e32 vcc, s18, v1
	v_cmp_le_u32_e64 s[18:19], s28, v1
	s_and_saveexec_b64 s[26:27], s[18:19]
	s_cbranch_execz .LBB46_44
; %bb.43:                               ;   in Loop: Header=BB46_42 Depth=1
	ds_write_b32 v6, v5
.LBB46_44:                              ;   in Loop: Header=BB46_42 Depth=1
	s_or_b64 exec, exec, s[26:27]
	s_and_saveexec_b64 s[18:19], vcc
	s_cbranch_execz .LBB46_46
; %bb.45:                               ;   in Loop: Header=BB46_42 Depth=1
	ds_write_b32 v6, v5 offset:148
.LBB46_46:                              ;   in Loop: Header=BB46_42 Depth=1
	s_or_b64 exec, exec, s[18:19]
	s_add_i32 s29, s28, 2
	s_add_i32 s18, s28, 3
	v_cmp_le_u32_e32 vcc, s18, v1
	v_cmp_le_u32_e64 s[18:19], s29, v1
	s_and_saveexec_b64 s[26:27], s[18:19]
	s_cbranch_execz .LBB46_48
; %bb.47:                               ;   in Loop: Header=BB46_42 Depth=1
	ds_write_b32 v4, v5
.LBB46_48:                              ;   in Loop: Header=BB46_42 Depth=1
	s_or_b64 exec, exec, s[26:27]
	s_and_saveexec_b64 s[18:19], vcc
	s_cbranch_execz .LBB46_50
; %bb.49:                               ;   in Loop: Header=BB46_42 Depth=1
	ds_write_b32 v4, v5 offset:148
.LBB46_50:                              ;   in Loop: Header=BB46_42 Depth=1
	s_or_b64 exec, exec, s[18:19]
	s_add_i32 s30, s29, 2
	s_add_i32 s29, s29, 3
	v_cmp_le_u32_e32 vcc, s29, v1
	v_cmp_le_u32_e64 s[18:19], s30, v1
	s_and_saveexec_b64 s[26:27], s[18:19]
	s_cbranch_execz .LBB46_52
; %bb.51:                               ;   in Loop: Header=BB46_42 Depth=1
	ds_write_b32 v4, v5 offset:296
.LBB46_52:                              ;   in Loop: Header=BB46_42 Depth=1
	s_or_b64 exec, exec, s[26:27]
	s_and_saveexec_b64 s[18:19], vcc
	s_cbranch_execz .LBB46_54
; %bb.53:                               ;   in Loop: Header=BB46_42 Depth=1
	ds_write_b32 v4, v5 offset:444
.LBB46_54:                              ;   in Loop: Header=BB46_42 Depth=1
	s_or_b64 exec, exec, s[18:19]
	s_add_i32 s29, s30, 2
	s_add_i32 s30, s30, 3
	v_cmp_le_u32_e32 vcc, s30, v1
	v_cmp_le_u32_e64 s[18:19], s29, v1
	s_and_saveexec_b64 s[26:27], s[18:19]
	s_cbranch_execz .LBB46_56
; %bb.55:                               ;   in Loop: Header=BB46_42 Depth=1
	ds_write_b32 v4, v5 offset:592
.LBB46_56:                              ;   in Loop: Header=BB46_42 Depth=1
	s_or_b64 exec, exec, s[26:27]
	s_and_saveexec_b64 s[18:19], vcc
	s_cbranch_execz .LBB46_41
; %bb.57:                               ;   in Loop: Header=BB46_42 Depth=1
	ds_write_b32 v4, v5 offset:740
	s_branch .LBB46_41
.LBB46_58:
	s_or_b64 exec, exec, s[24:25]
.LBB46_59:
	s_or_b64 exec, exec, s[22:23]
	v_and_b32_e32 v3, 3, v2
	v_cmp_ne_u32_e32 vcc, 0, v3
	s_and_b64 exec, exec, vcc
	s_cbranch_execz .LBB46_66
; %bb.60:
	s_movk_i32 s18, 0x94
	v_mul_lo_u32 v2, v7, s18
	v_mul_u32_u24_e32 v4, 34, v0
	v_add3_u32 v2, v18, v2, v4
	v_mul_u32_u24_e32 v3, 0x94, v3
	s_mov_b64 s[22:23], 0
	v_mov_b32_e32 v4, 0
	s_branch .LBB46_62
.LBB46_61:                              ;   in Loop: Header=BB46_62 Depth=1
	s_or_b64 exec, exec, s[18:19]
	v_add_u32_e32 v3, 0xffffff6c, v3
	v_cmp_eq_u32_e32 vcc, 0, v3
	v_add_u32_e32 v7, 2, v7
	s_or_b64 s[22:23], vcc, s[22:23]
	v_add_u32_e32 v2, 0x128, v2
	s_andn2_b64 exec, exec, s[22:23]
	s_cbranch_execz .LBB46_66
.LBB46_62:                              ; =>This Inner Loop Header: Depth=1
	v_or_b32_e32 v5, 1, v7
	v_cmp_le_u32_e32 vcc, v5, v1
	v_cmp_le_u32_e64 s[18:19], v7, v1
	s_and_saveexec_b64 s[24:25], s[18:19]
	s_cbranch_execz .LBB46_64
; %bb.63:                               ;   in Loop: Header=BB46_62 Depth=1
	ds_write_b32 v2, v4
.LBB46_64:                              ;   in Loop: Header=BB46_62 Depth=1
	s_or_b64 exec, exec, s[24:25]
	s_and_saveexec_b64 s[18:19], vcc
	s_cbranch_execz .LBB46_61
; %bb.65:                               ;   in Loop: Header=BB46_62 Depth=1
	ds_write_b32 v2, v4 offset:148
	s_branch .LBB46_61
.LBB46_66:
	s_or_b64 exec, exec, s[20:21]
	s_movk_i32 s18, 0x7fff
	v_mov_b32_e32 v1, 0xffff8000
	v_cmp_ne_u16_e32 vcc, s18, v20
	v_cndmask_b32_e32 v1, v1, v20, vcc
	v_mov_b32_e32 v2, 7
	v_mov_b32_e32 v3, 2
	v_and_b32_sdwa v2, v1, v2 dst_sel:DWORD dst_unused:UNUSED_PAD src0_sel:WORD_0 src1_sel:DWORD
	v_lshrrev_b32_sdwa v1, v3, v1 dst_sel:DWORD dst_unused:UNUSED_PAD src0_sel:DWORD src1_sel:WORD_0
	v_mad_u32_u24 v2, v2, 37, v0
	v_and_b32_e32 v1, 2, v1
	v_lshl_or_b32 v1, v2, 2, v1
	ds_read_u16 v21, v1
	s_waitcnt lgkmcnt(0)
	v_add_u16_e32 v2, 1, v21
	ds_write_b16 v1, v2
	s_waitcnt lgkmcnt(0)
	; wave barrier
	s_waitcnt lgkmcnt(0)
	ds_read2_b64 v[6:9], v16 offset1:1
	ds_read2_b64 v[2:5], v16 offset0:2 offset1:3
	s_waitcnt lgkmcnt(1)
	v_add_u32_e32 v22, v7, v6
	v_add3_u32 v22, v22, v8, v9
	s_waitcnt lgkmcnt(0)
	v_add3_u32 v22, v22, v2, v3
	v_add3_u32 v5, v22, v4, v5
	s_nop 1
	v_mov_b32_dpp v22, v5 row_shr:1 row_mask:0xf bank_mask:0xf
	v_cndmask_b32_e64 v22, v22, 0, s[14:15]
	v_add_u32_e32 v5, v22, v5
	s_nop 1
	v_mov_b32_dpp v22, v5 row_shr:2 row_mask:0xf bank_mask:0xf
	v_cndmask_b32_e64 v22, 0, v22, s[12:13]
	v_add_u32_e32 v5, v5, v22
	;; [unrolled: 4-line block ×4, first 2 shown]
	s_nop 1
	v_mov_b32_dpp v22, v5 row_bcast:15 row_mask:0xf bank_mask:0xf
	v_cndmask_b32_e64 v22, v22, 0, s[6:7]
	v_add_u32_e32 v5, v5, v22
	s_nop 1
	v_mov_b32_dpp v22, v5 row_bcast:31 row_mask:0xf bank_mask:0xf
	v_cndmask_b32_e64 v22, 0, v22, s[4:5]
	v_add_u32_e32 v5, v5, v22
	s_and_saveexec_b64 s[18:19], s[2:3]
	s_cbranch_execz .LBB46_68
; %bb.67:
	v_mov_b32_e32 v22, 0
	ds_write_b32 v22, v5 offset:1184
.LBB46_68:
	s_or_b64 exec, exec, s[18:19]
	ds_bpermute_b32 v22, v17, v5
	v_mov_b32_e32 v5, 0
	s_waitcnt lgkmcnt(0)
	; wave barrier
	s_waitcnt lgkmcnt(0)
	ds_read_b32 v23, v5 offset:1184
	v_cndmask_b32_e64 v22, v22, 0, s[0:1]
	s_waitcnt lgkmcnt(0)
	v_lshl_add_u32 v22, v23, 16, v22
	v_add_u32_e32 v23, v22, v6
	v_add_u32_e32 v6, v23, v7
	;; [unrolled: 1-line block ×7, first 2 shown]
	ds_write2_b64 v16, v[22:23], v[6:7] offset1:1
	ds_write2_b64 v16, v[8:9], v[2:3] offset0:2 offset1:3
	s_waitcnt lgkmcnt(0)
	; wave barrier
	s_waitcnt lgkmcnt(0)
	ds_read_u16 v1, v1
	v_and_b32_e32 v2, 0xffff, v21
	s_waitcnt lgkmcnt(0)
	; wave barrier
	s_waitcnt lgkmcnt(0)
	v_add_lshl_u32 v2, v1, v2, 1
	ds_write_b16 v2, v20
	v_add_u32_e32 v2, v2, v2
	s_waitcnt lgkmcnt(0)
	; wave barrier
	s_waitcnt lgkmcnt(0)
	ds_read_u16 v1, v15
	s_waitcnt lgkmcnt(0)
	; wave barrier
	s_waitcnt vmcnt(0) lgkmcnt(0)
	ds_write_b32 v2, v19
	s_waitcnt lgkmcnt(0)
	; wave barrier
	s_waitcnt lgkmcnt(0)
	ds_read_b32 v19, v14
	s_waitcnt lgkmcnt(0)
	; wave barrier
	s_waitcnt lgkmcnt(0)
	s_and_saveexec_b64 s[20:21], s[16:17]
	s_cbranch_execz .LBB46_96
; %bb.69:
	s_movk_i32 s18, 0x103
	v_bfrev_b32_e32 v3, -4.0
	v_cmp_gt_u32_e32 vcc, s18, v0
	v_subb_co_u32_e64 v3, s[18:19], v3, v0, vcc
	s_mov_b32 s18, 0xbacf914d
	v_sub_u32_e32 v2, 0x103, v0
	v_mul_hi_u32 v3, v3, s18
	v_subb_co_u32_e64 v2, s[18:19], v2, v3, vcc
	v_lshrrev_b32_e32 v2, 1, v2
	v_add_u32_e32 v2, v2, v3
	v_lshrrev_b32_e32 v2, 5, v2
	v_addc_co_u32_e32 v2, vcc, 0, v2, vcc
	v_lshrrev_b32_e32 v3, 1, v2
	s_mov_b32 s28, 0
	v_add_u32_e32 v3, 1, v3
	v_cmp_lt_u32_e32 vcc, 5, v2
	s_and_saveexec_b64 s[22:23], vcc
	s_cbranch_execz .LBB46_89
; %bb.70:
	v_mov_b32_e32 v5, 0x128
	v_and_b32_e32 v4, 0xffffffc, v3
	v_lshl_add_u32 v6, v0, 2, v5
	s_mov_b64 s[24:25], 0
	v_mov_b32_e32 v7, 0
	v_mov_b32_e32 v8, v14
	s_branch .LBB46_72
.LBB46_71:                              ;   in Loop: Header=BB46_72 Depth=1
	s_or_b64 exec, exec, s[18:19]
	v_add_u32_e32 v4, -4, v4
	s_add_i32 s18, s28, 8
	v_cmp_eq_u32_e32 vcc, 0, v4
	s_add_i32 s28, s29, 2
	v_add_u32_e32 v8, 0x4a0, v8
	v_add_u32_e32 v6, 0x4a0, v6
	s_or_b64 s[24:25], vcc, s[24:25]
	v_mov_b32_e32 v5, s18
	s_andn2_b64 exec, exec, s[24:25]
	s_cbranch_execz .LBB46_88
.LBB46_72:                              ; =>This Inner Loop Header: Depth=1
	s_or_b32 s18, s28, 1
	v_cmp_le_u32_e32 vcc, s18, v2
	v_cmp_le_u32_e64 s[18:19], s28, v2
	s_and_saveexec_b64 s[26:27], s[18:19]
	s_cbranch_execz .LBB46_74
; %bb.73:                               ;   in Loop: Header=BB46_72 Depth=1
	ds_write_b32 v8, v7
.LBB46_74:                              ;   in Loop: Header=BB46_72 Depth=1
	s_or_b64 exec, exec, s[26:27]
	s_and_saveexec_b64 s[18:19], vcc
	s_cbranch_execz .LBB46_76
; %bb.75:                               ;   in Loop: Header=BB46_72 Depth=1
	ds_write_b32 v8, v7 offset:148
.LBB46_76:                              ;   in Loop: Header=BB46_72 Depth=1
	s_or_b64 exec, exec, s[18:19]
	s_add_i32 s29, s28, 2
	s_add_i32 s18, s28, 3
	v_cmp_le_u32_e32 vcc, s18, v2
	v_cmp_le_u32_e64 s[18:19], s29, v2
	s_and_saveexec_b64 s[26:27], s[18:19]
	s_cbranch_execz .LBB46_78
; %bb.77:                               ;   in Loop: Header=BB46_72 Depth=1
	ds_write_b32 v6, v7
.LBB46_78:                              ;   in Loop: Header=BB46_72 Depth=1
	s_or_b64 exec, exec, s[26:27]
	s_and_saveexec_b64 s[18:19], vcc
	s_cbranch_execz .LBB46_80
; %bb.79:                               ;   in Loop: Header=BB46_72 Depth=1
	ds_write_b32 v6, v7 offset:148
.LBB46_80:                              ;   in Loop: Header=BB46_72 Depth=1
	s_or_b64 exec, exec, s[18:19]
	s_add_i32 s30, s29, 2
	s_add_i32 s29, s29, 3
	v_cmp_le_u32_e32 vcc, s29, v2
	v_cmp_le_u32_e64 s[18:19], s30, v2
	s_and_saveexec_b64 s[26:27], s[18:19]
	s_cbranch_execz .LBB46_82
; %bb.81:                               ;   in Loop: Header=BB46_72 Depth=1
	ds_write_b32 v6, v7 offset:296
.LBB46_82:                              ;   in Loop: Header=BB46_72 Depth=1
	s_or_b64 exec, exec, s[26:27]
	s_and_saveexec_b64 s[18:19], vcc
	s_cbranch_execz .LBB46_84
; %bb.83:                               ;   in Loop: Header=BB46_72 Depth=1
	ds_write_b32 v6, v7 offset:444
.LBB46_84:                              ;   in Loop: Header=BB46_72 Depth=1
	s_or_b64 exec, exec, s[18:19]
	s_add_i32 s29, s30, 2
	s_add_i32 s30, s30, 3
	v_cmp_le_u32_e32 vcc, s30, v2
	v_cmp_le_u32_e64 s[18:19], s29, v2
	s_and_saveexec_b64 s[26:27], s[18:19]
	s_cbranch_execz .LBB46_86
; %bb.85:                               ;   in Loop: Header=BB46_72 Depth=1
	ds_write_b32 v6, v7 offset:592
.LBB46_86:                              ;   in Loop: Header=BB46_72 Depth=1
	s_or_b64 exec, exec, s[26:27]
	s_and_saveexec_b64 s[18:19], vcc
	s_cbranch_execz .LBB46_71
; %bb.87:                               ;   in Loop: Header=BB46_72 Depth=1
	ds_write_b32 v6, v7 offset:740
	s_branch .LBB46_71
.LBB46_88:
	s_or_b64 exec, exec, s[24:25]
.LBB46_89:
	s_or_b64 exec, exec, s[22:23]
	v_and_b32_e32 v4, 3, v3
	v_cmp_ne_u32_e32 vcc, 0, v4
	s_and_b64 exec, exec, vcc
	s_cbranch_execz .LBB46_96
; %bb.90:
	s_movk_i32 s18, 0x94
	v_mul_lo_u32 v3, v5, s18
	v_mul_u32_u24_e32 v6, 34, v0
	v_add3_u32 v3, v18, v3, v6
	v_mul_u32_u24_e32 v4, 0x94, v4
	s_mov_b64 s[22:23], 0
	v_mov_b32_e32 v6, 0
	s_branch .LBB46_92
.LBB46_91:                              ;   in Loop: Header=BB46_92 Depth=1
	s_or_b64 exec, exec, s[18:19]
	v_add_u32_e32 v4, 0xffffff6c, v4
	v_cmp_eq_u32_e32 vcc, 0, v4
	v_add_u32_e32 v5, 2, v5
	s_or_b64 s[22:23], vcc, s[22:23]
	v_add_u32_e32 v3, 0x128, v3
	s_andn2_b64 exec, exec, s[22:23]
	s_cbranch_execz .LBB46_96
.LBB46_92:                              ; =>This Inner Loop Header: Depth=1
	v_or_b32_e32 v7, 1, v5
	v_cmp_le_u32_e32 vcc, v7, v2
	v_cmp_le_u32_e64 s[18:19], v5, v2
	s_and_saveexec_b64 s[24:25], s[18:19]
	s_cbranch_execz .LBB46_94
; %bb.93:                               ;   in Loop: Header=BB46_92 Depth=1
	ds_write_b32 v3, v6
.LBB46_94:                              ;   in Loop: Header=BB46_92 Depth=1
	s_or_b64 exec, exec, s[24:25]
	s_and_saveexec_b64 s[18:19], vcc
	s_cbranch_execz .LBB46_91
; %bb.95:                               ;   in Loop: Header=BB46_92 Depth=1
	ds_write_b32 v3, v6 offset:148
	s_branch .LBB46_91
.LBB46_96:
	s_or_b64 exec, exec, s[20:21]
	s_movk_i32 s18, 0x7fff
	v_lshrrev_b16_e32 v2, 4, v1
	v_mov_b32_e32 v3, 0x800
	v_cmp_ne_u16_e32 vcc, s18, v1
	v_cndmask_b32_e32 v2, v3, v2, vcc
	v_mov_b32_e32 v3, 7
	v_mov_b32_e32 v4, 2
	v_and_b32_sdwa v3, v2, v3 dst_sel:DWORD dst_unused:UNUSED_PAD src0_sel:WORD_0 src1_sel:DWORD
	v_lshrrev_b32_sdwa v2, v4, v2 dst_sel:DWORD dst_unused:UNUSED_PAD src0_sel:DWORD src1_sel:WORD_0
	v_mad_u32_u24 v3, v3, 37, v0
	v_and_b32_e32 v2, 2, v2
	v_lshl_or_b32 v20, v3, 2, v2
	ds_read_u16 v21, v20
	s_waitcnt lgkmcnt(0)
	v_add_u16_e32 v2, 1, v21
	ds_write_b16 v20, v2
	s_waitcnt lgkmcnt(0)
	; wave barrier
	s_waitcnt lgkmcnt(0)
	ds_read2_b64 v[6:9], v16 offset1:1
	ds_read2_b64 v[2:5], v16 offset0:2 offset1:3
	s_waitcnt lgkmcnt(1)
	v_add_u32_e32 v22, v7, v6
	v_add3_u32 v22, v22, v8, v9
	s_waitcnt lgkmcnt(0)
	v_add3_u32 v22, v22, v2, v3
	v_add3_u32 v5, v22, v4, v5
	s_nop 1
	v_mov_b32_dpp v22, v5 row_shr:1 row_mask:0xf bank_mask:0xf
	v_cndmask_b32_e64 v22, v22, 0, s[14:15]
	v_add_u32_e32 v5, v22, v5
	s_nop 1
	v_mov_b32_dpp v22, v5 row_shr:2 row_mask:0xf bank_mask:0xf
	v_cndmask_b32_e64 v22, 0, v22, s[12:13]
	v_add_u32_e32 v5, v5, v22
	;; [unrolled: 4-line block ×4, first 2 shown]
	s_nop 1
	v_mov_b32_dpp v22, v5 row_bcast:15 row_mask:0xf bank_mask:0xf
	v_cndmask_b32_e64 v22, v22, 0, s[6:7]
	v_add_u32_e32 v5, v5, v22
	s_nop 1
	v_mov_b32_dpp v22, v5 row_bcast:31 row_mask:0xf bank_mask:0xf
	v_cndmask_b32_e64 v22, 0, v22, s[4:5]
	v_add_u32_e32 v5, v5, v22
	s_and_saveexec_b64 s[18:19], s[2:3]
	s_cbranch_execz .LBB46_98
; %bb.97:
	v_mov_b32_e32 v22, 0
	ds_write_b32 v22, v5 offset:1184
.LBB46_98:
	s_or_b64 exec, exec, s[18:19]
	ds_bpermute_b32 v22, v17, v5
	v_mov_b32_e32 v5, 0
	s_waitcnt lgkmcnt(0)
	; wave barrier
	s_waitcnt lgkmcnt(0)
	ds_read_b32 v23, v5 offset:1184
	v_cndmask_b32_e64 v22, v22, 0, s[0:1]
	s_waitcnt lgkmcnt(0)
	v_lshl_add_u32 v22, v23, 16, v22
	v_add_u32_e32 v23, v22, v6
	v_add_u32_e32 v6, v23, v7
	;; [unrolled: 1-line block ×7, first 2 shown]
	ds_write2_b64 v16, v[22:23], v[6:7] offset1:1
	ds_write2_b64 v16, v[8:9], v[2:3] offset0:2 offset1:3
	s_waitcnt lgkmcnt(0)
	; wave barrier
	s_waitcnt lgkmcnt(0)
	ds_read_u16 v2, v20
	v_and_b32_e32 v3, 0xffff, v21
	s_waitcnt lgkmcnt(0)
	; wave barrier
	s_waitcnt lgkmcnt(0)
	v_add_lshl_u32 v2, v2, v3, 1
	ds_write_b16 v2, v1
	v_add_u32_e32 v2, v2, v2
	s_waitcnt lgkmcnt(0)
	; wave barrier
	s_waitcnt lgkmcnt(0)
	ds_read_u16 v1, v15
	s_waitcnt lgkmcnt(0)
	; wave barrier
	s_waitcnt lgkmcnt(0)
	ds_write_b32 v2, v19
	s_waitcnt lgkmcnt(0)
	; wave barrier
	s_waitcnt lgkmcnt(0)
	ds_read_b32 v19, v14
	s_waitcnt lgkmcnt(0)
	; wave barrier
	s_waitcnt lgkmcnt(0)
	s_and_saveexec_b64 s[20:21], s[16:17]
	s_cbranch_execz .LBB46_126
; %bb.99:
	s_movk_i32 s18, 0x103
	v_bfrev_b32_e32 v3, -4.0
	v_cmp_gt_u32_e32 vcc, s18, v0
	v_subb_co_u32_e64 v3, s[18:19], v3, v0, vcc
	s_mov_b32 s18, 0xbacf914d
	v_sub_u32_e32 v2, 0x103, v0
	v_mul_hi_u32 v3, v3, s18
	v_subb_co_u32_e64 v2, s[18:19], v2, v3, vcc
	v_lshrrev_b32_e32 v2, 1, v2
	v_add_u32_e32 v2, v2, v3
	v_lshrrev_b32_e32 v2, 5, v2
	v_addc_co_u32_e32 v2, vcc, 0, v2, vcc
	v_lshrrev_b32_e32 v3, 1, v2
	s_mov_b32 s28, 0
	v_add_u32_e32 v3, 1, v3
	v_cmp_lt_u32_e32 vcc, 5, v2
	s_and_saveexec_b64 s[22:23], vcc
	s_cbranch_execz .LBB46_119
; %bb.100:
	v_mov_b32_e32 v5, 0x128
	v_and_b32_e32 v4, 0xffffffc, v3
	v_lshl_add_u32 v6, v0, 2, v5
	s_mov_b64 s[24:25], 0
	v_mov_b32_e32 v7, 0
	v_mov_b32_e32 v8, v14
	s_branch .LBB46_102
.LBB46_101:                             ;   in Loop: Header=BB46_102 Depth=1
	s_or_b64 exec, exec, s[18:19]
	v_add_u32_e32 v4, -4, v4
	s_add_i32 s18, s28, 8
	v_cmp_eq_u32_e32 vcc, 0, v4
	s_add_i32 s28, s29, 2
	v_add_u32_e32 v8, 0x4a0, v8
	v_add_u32_e32 v6, 0x4a0, v6
	s_or_b64 s[24:25], vcc, s[24:25]
	v_mov_b32_e32 v5, s18
	s_andn2_b64 exec, exec, s[24:25]
	s_cbranch_execz .LBB46_118
.LBB46_102:                             ; =>This Inner Loop Header: Depth=1
	s_or_b32 s18, s28, 1
	v_cmp_le_u32_e32 vcc, s18, v2
	v_cmp_le_u32_e64 s[18:19], s28, v2
	s_and_saveexec_b64 s[26:27], s[18:19]
	s_cbranch_execz .LBB46_104
; %bb.103:                              ;   in Loop: Header=BB46_102 Depth=1
	ds_write_b32 v8, v7
.LBB46_104:                             ;   in Loop: Header=BB46_102 Depth=1
	s_or_b64 exec, exec, s[26:27]
	s_and_saveexec_b64 s[18:19], vcc
	s_cbranch_execz .LBB46_106
; %bb.105:                              ;   in Loop: Header=BB46_102 Depth=1
	ds_write_b32 v8, v7 offset:148
.LBB46_106:                             ;   in Loop: Header=BB46_102 Depth=1
	s_or_b64 exec, exec, s[18:19]
	s_add_i32 s29, s28, 2
	s_add_i32 s18, s28, 3
	v_cmp_le_u32_e32 vcc, s18, v2
	v_cmp_le_u32_e64 s[18:19], s29, v2
	s_and_saveexec_b64 s[26:27], s[18:19]
	s_cbranch_execz .LBB46_108
; %bb.107:                              ;   in Loop: Header=BB46_102 Depth=1
	ds_write_b32 v6, v7
.LBB46_108:                             ;   in Loop: Header=BB46_102 Depth=1
	s_or_b64 exec, exec, s[26:27]
	s_and_saveexec_b64 s[18:19], vcc
	s_cbranch_execz .LBB46_110
; %bb.109:                              ;   in Loop: Header=BB46_102 Depth=1
	ds_write_b32 v6, v7 offset:148
.LBB46_110:                             ;   in Loop: Header=BB46_102 Depth=1
	s_or_b64 exec, exec, s[18:19]
	s_add_i32 s30, s29, 2
	s_add_i32 s29, s29, 3
	v_cmp_le_u32_e32 vcc, s29, v2
	v_cmp_le_u32_e64 s[18:19], s30, v2
	s_and_saveexec_b64 s[26:27], s[18:19]
	s_cbranch_execz .LBB46_112
; %bb.111:                              ;   in Loop: Header=BB46_102 Depth=1
	ds_write_b32 v6, v7 offset:296
.LBB46_112:                             ;   in Loop: Header=BB46_102 Depth=1
	s_or_b64 exec, exec, s[26:27]
	s_and_saveexec_b64 s[18:19], vcc
	s_cbranch_execz .LBB46_114
; %bb.113:                              ;   in Loop: Header=BB46_102 Depth=1
	ds_write_b32 v6, v7 offset:444
.LBB46_114:                             ;   in Loop: Header=BB46_102 Depth=1
	s_or_b64 exec, exec, s[18:19]
	s_add_i32 s29, s30, 2
	s_add_i32 s30, s30, 3
	v_cmp_le_u32_e32 vcc, s30, v2
	v_cmp_le_u32_e64 s[18:19], s29, v2
	s_and_saveexec_b64 s[26:27], s[18:19]
	s_cbranch_execz .LBB46_116
; %bb.115:                              ;   in Loop: Header=BB46_102 Depth=1
	ds_write_b32 v6, v7 offset:592
.LBB46_116:                             ;   in Loop: Header=BB46_102 Depth=1
	s_or_b64 exec, exec, s[26:27]
	s_and_saveexec_b64 s[18:19], vcc
	s_cbranch_execz .LBB46_101
; %bb.117:                              ;   in Loop: Header=BB46_102 Depth=1
	ds_write_b32 v6, v7 offset:740
	s_branch .LBB46_101
.LBB46_118:
	s_or_b64 exec, exec, s[24:25]
.LBB46_119:
	s_or_b64 exec, exec, s[22:23]
	v_and_b32_e32 v4, 3, v3
	v_cmp_ne_u32_e32 vcc, 0, v4
	s_and_b64 exec, exec, vcc
	s_cbranch_execz .LBB46_126
; %bb.120:
	s_movk_i32 s18, 0x94
	v_mul_lo_u32 v3, v5, s18
	v_mul_u32_u24_e32 v6, 34, v0
	v_add3_u32 v3, v18, v3, v6
	v_mul_u32_u24_e32 v4, 0x94, v4
	s_mov_b64 s[22:23], 0
	v_mov_b32_e32 v6, 0
	s_branch .LBB46_122
.LBB46_121:                             ;   in Loop: Header=BB46_122 Depth=1
	s_or_b64 exec, exec, s[18:19]
	v_add_u32_e32 v4, 0xffffff6c, v4
	v_cmp_eq_u32_e32 vcc, 0, v4
	v_add_u32_e32 v5, 2, v5
	s_or_b64 s[22:23], vcc, s[22:23]
	v_add_u32_e32 v3, 0x128, v3
	s_andn2_b64 exec, exec, s[22:23]
	s_cbranch_execz .LBB46_126
.LBB46_122:                             ; =>This Inner Loop Header: Depth=1
	v_or_b32_e32 v7, 1, v5
	v_cmp_le_u32_e32 vcc, v7, v2
	v_cmp_le_u32_e64 s[18:19], v5, v2
	s_and_saveexec_b64 s[24:25], s[18:19]
	s_cbranch_execz .LBB46_124
; %bb.123:                              ;   in Loop: Header=BB46_122 Depth=1
	ds_write_b32 v3, v6
.LBB46_124:                             ;   in Loop: Header=BB46_122 Depth=1
	s_or_b64 exec, exec, s[24:25]
	s_and_saveexec_b64 s[18:19], vcc
	s_cbranch_execz .LBB46_121
; %bb.125:                              ;   in Loop: Header=BB46_122 Depth=1
	ds_write_b32 v3, v6 offset:148
	s_branch .LBB46_121
.LBB46_126:
	s_or_b64 exec, exec, s[20:21]
	s_movk_i32 s18, 0x7fff
	v_lshrrev_b16_e32 v2, 8, v1
	v_mov_b32_e32 v3, 0x80
	v_cmp_ne_u16_e32 vcc, s18, v1
	v_cndmask_b32_e32 v2, v3, v2, vcc
	v_mov_b32_e32 v3, 7
	v_mov_b32_e32 v4, 2
	v_and_b32_sdwa v3, v2, v3 dst_sel:DWORD dst_unused:UNUSED_PAD src0_sel:WORD_0 src1_sel:DWORD
	v_lshrrev_b32_sdwa v2, v4, v2 dst_sel:DWORD dst_unused:UNUSED_PAD src0_sel:DWORD src1_sel:WORD_0
	v_mad_u32_u24 v3, v3, 37, v0
	v_and_b32_e32 v2, 2, v2
	v_lshl_or_b32 v20, v3, 2, v2
	ds_read_u16 v21, v20
	s_waitcnt lgkmcnt(0)
	v_add_u16_e32 v2, 1, v21
	ds_write_b16 v20, v2
	s_waitcnt lgkmcnt(0)
	; wave barrier
	s_waitcnt lgkmcnt(0)
	ds_read2_b64 v[6:9], v16 offset1:1
	ds_read2_b64 v[2:5], v16 offset0:2 offset1:3
	s_waitcnt lgkmcnt(1)
	v_add_u32_e32 v22, v7, v6
	v_add3_u32 v22, v22, v8, v9
	s_waitcnt lgkmcnt(0)
	v_add3_u32 v22, v22, v2, v3
	v_add3_u32 v5, v22, v4, v5
	s_nop 1
	v_mov_b32_dpp v22, v5 row_shr:1 row_mask:0xf bank_mask:0xf
	v_cndmask_b32_e64 v22, v22, 0, s[14:15]
	v_add_u32_e32 v5, v22, v5
	s_nop 1
	v_mov_b32_dpp v22, v5 row_shr:2 row_mask:0xf bank_mask:0xf
	v_cndmask_b32_e64 v22, 0, v22, s[12:13]
	v_add_u32_e32 v5, v5, v22
	;; [unrolled: 4-line block ×4, first 2 shown]
	s_nop 1
	v_mov_b32_dpp v22, v5 row_bcast:15 row_mask:0xf bank_mask:0xf
	v_cndmask_b32_e64 v22, v22, 0, s[6:7]
	v_add_u32_e32 v5, v5, v22
	s_nop 1
	v_mov_b32_dpp v22, v5 row_bcast:31 row_mask:0xf bank_mask:0xf
	v_cndmask_b32_e64 v22, 0, v22, s[4:5]
	v_add_u32_e32 v5, v5, v22
	s_and_saveexec_b64 s[18:19], s[2:3]
	s_cbranch_execz .LBB46_128
; %bb.127:
	v_mov_b32_e32 v22, 0
	ds_write_b32 v22, v5 offset:1184
.LBB46_128:
	s_or_b64 exec, exec, s[18:19]
	ds_bpermute_b32 v22, v17, v5
	v_mov_b32_e32 v5, 0
	s_waitcnt lgkmcnt(0)
	; wave barrier
	s_waitcnt lgkmcnt(0)
	ds_read_b32 v23, v5 offset:1184
	v_cndmask_b32_e64 v22, v22, 0, s[0:1]
	s_waitcnt lgkmcnt(0)
	v_lshl_add_u32 v22, v23, 16, v22
	v_add_u32_e32 v23, v22, v6
	v_add_u32_e32 v6, v23, v7
	;; [unrolled: 1-line block ×7, first 2 shown]
	ds_write2_b64 v16, v[22:23], v[6:7] offset1:1
	ds_write2_b64 v16, v[8:9], v[2:3] offset0:2 offset1:3
	s_waitcnt lgkmcnt(0)
	; wave barrier
	s_waitcnt lgkmcnt(0)
	ds_read_u16 v2, v20
	v_and_b32_e32 v3, 0xffff, v21
	s_waitcnt lgkmcnt(0)
	; wave barrier
	s_waitcnt lgkmcnt(0)
	v_add_lshl_u32 v2, v2, v3, 1
	ds_write_b16 v2, v1
	v_add_u32_e32 v1, v2, v2
	s_waitcnt lgkmcnt(0)
	; wave barrier
	s_waitcnt lgkmcnt(0)
	ds_read_u16 v8, v15
	s_waitcnt lgkmcnt(0)
	; wave barrier
	s_waitcnt lgkmcnt(0)
	ds_write_b32 v1, v19
	s_waitcnt lgkmcnt(0)
	; wave barrier
	s_waitcnt lgkmcnt(0)
	ds_read_b32 v9, v14
	s_waitcnt lgkmcnt(0)
	; wave barrier
	s_waitcnt lgkmcnt(0)
	s_and_saveexec_b64 s[18:19], s[16:17]
	s_cbranch_execz .LBB46_156
; %bb.129:
	s_movk_i32 s16, 0x103
	v_bfrev_b32_e32 v2, -4.0
	v_cmp_gt_u32_e32 vcc, s16, v0
	v_subb_co_u32_e64 v2, s[16:17], v2, v0, vcc
	s_mov_b32 s16, 0xbacf914d
	v_sub_u32_e32 v1, 0x103, v0
	v_mul_hi_u32 v2, v2, s16
	v_subb_co_u32_e64 v1, s[16:17], v1, v2, vcc
	v_lshrrev_b32_e32 v1, 1, v1
	v_add_u32_e32 v1, v1, v2
	v_lshrrev_b32_e32 v1, 5, v1
	v_addc_co_u32_e32 v1, vcc, 0, v1, vcc
	v_lshrrev_b32_e32 v2, 1, v1
	s_mov_b32 s26, 0
	v_add_u32_e32 v2, 1, v2
	v_cmp_lt_u32_e32 vcc, 5, v1
	s_and_saveexec_b64 s[20:21], vcc
	s_cbranch_execz .LBB46_149
; %bb.130:
	v_mov_b32_e32 v4, 0x128
	v_and_b32_e32 v3, 0xffffffc, v2
	v_lshl_add_u32 v4, v0, 2, v4
	s_mov_b64 s[22:23], 0
	v_mov_b32_e32 v6, 0
	v_mov_b32_e32 v7, v14
	s_branch .LBB46_132
.LBB46_131:                             ;   in Loop: Header=BB46_132 Depth=1
	s_or_b64 exec, exec, s[16:17]
	v_add_u32_e32 v3, -4, v3
	s_add_i32 s16, s26, 8
	v_cmp_eq_u32_e32 vcc, 0, v3
	s_add_i32 s26, s27, 2
	v_add_u32_e32 v7, 0x4a0, v7
	v_add_u32_e32 v4, 0x4a0, v4
	s_or_b64 s[22:23], vcc, s[22:23]
	v_mov_b32_e32 v5, s16
	s_andn2_b64 exec, exec, s[22:23]
	s_cbranch_execz .LBB46_148
.LBB46_132:                             ; =>This Inner Loop Header: Depth=1
	s_or_b32 s16, s26, 1
	v_cmp_le_u32_e32 vcc, s16, v1
	v_cmp_le_u32_e64 s[16:17], s26, v1
	s_and_saveexec_b64 s[24:25], s[16:17]
	s_cbranch_execz .LBB46_134
; %bb.133:                              ;   in Loop: Header=BB46_132 Depth=1
	ds_write_b32 v7, v6
.LBB46_134:                             ;   in Loop: Header=BB46_132 Depth=1
	s_or_b64 exec, exec, s[24:25]
	s_and_saveexec_b64 s[16:17], vcc
	s_cbranch_execz .LBB46_136
; %bb.135:                              ;   in Loop: Header=BB46_132 Depth=1
	ds_write_b32 v7, v6 offset:148
.LBB46_136:                             ;   in Loop: Header=BB46_132 Depth=1
	s_or_b64 exec, exec, s[16:17]
	s_add_i32 s27, s26, 2
	s_add_i32 s16, s26, 3
	v_cmp_le_u32_e32 vcc, s16, v1
	v_cmp_le_u32_e64 s[16:17], s27, v1
	s_and_saveexec_b64 s[24:25], s[16:17]
	s_cbranch_execz .LBB46_138
; %bb.137:                              ;   in Loop: Header=BB46_132 Depth=1
	ds_write_b32 v4, v6
.LBB46_138:                             ;   in Loop: Header=BB46_132 Depth=1
	s_or_b64 exec, exec, s[24:25]
	s_and_saveexec_b64 s[16:17], vcc
	s_cbranch_execz .LBB46_140
; %bb.139:                              ;   in Loop: Header=BB46_132 Depth=1
	ds_write_b32 v4, v6 offset:148
.LBB46_140:                             ;   in Loop: Header=BB46_132 Depth=1
	s_or_b64 exec, exec, s[16:17]
	s_add_i32 s28, s27, 2
	s_add_i32 s27, s27, 3
	v_cmp_le_u32_e32 vcc, s27, v1
	v_cmp_le_u32_e64 s[16:17], s28, v1
	s_and_saveexec_b64 s[24:25], s[16:17]
	s_cbranch_execz .LBB46_142
; %bb.141:                              ;   in Loop: Header=BB46_132 Depth=1
	ds_write_b32 v4, v6 offset:296
.LBB46_142:                             ;   in Loop: Header=BB46_132 Depth=1
	s_or_b64 exec, exec, s[24:25]
	s_and_saveexec_b64 s[16:17], vcc
	s_cbranch_execz .LBB46_144
; %bb.143:                              ;   in Loop: Header=BB46_132 Depth=1
	ds_write_b32 v4, v6 offset:444
.LBB46_144:                             ;   in Loop: Header=BB46_132 Depth=1
	s_or_b64 exec, exec, s[16:17]
	s_add_i32 s27, s28, 2
	s_add_i32 s28, s28, 3
	v_cmp_le_u32_e32 vcc, s28, v1
	v_cmp_le_u32_e64 s[16:17], s27, v1
	s_and_saveexec_b64 s[24:25], s[16:17]
	s_cbranch_execz .LBB46_146
; %bb.145:                              ;   in Loop: Header=BB46_132 Depth=1
	ds_write_b32 v4, v6 offset:592
.LBB46_146:                             ;   in Loop: Header=BB46_132 Depth=1
	s_or_b64 exec, exec, s[24:25]
	s_and_saveexec_b64 s[16:17], vcc
	s_cbranch_execz .LBB46_131
; %bb.147:                              ;   in Loop: Header=BB46_132 Depth=1
	ds_write_b32 v4, v6 offset:740
	s_branch .LBB46_131
.LBB46_148:
	s_or_b64 exec, exec, s[22:23]
.LBB46_149:
	s_or_b64 exec, exec, s[20:21]
	v_and_b32_e32 v3, 3, v2
	v_cmp_ne_u32_e32 vcc, 0, v3
	s_and_b64 exec, exec, vcc
	s_cbranch_execz .LBB46_156
; %bb.150:
	s_movk_i32 s16, 0x94
	v_mul_lo_u32 v2, v5, s16
	v_mul_u32_u24_e32 v4, 34, v0
	v_add3_u32 v2, v18, v2, v4
	v_mul_u32_u24_e32 v3, 0x94, v3
	s_mov_b64 s[20:21], 0
	v_mov_b32_e32 v4, 0
	s_branch .LBB46_152
.LBB46_151:                             ;   in Loop: Header=BB46_152 Depth=1
	s_or_b64 exec, exec, s[16:17]
	v_add_u32_e32 v3, 0xffffff6c, v3
	v_cmp_eq_u32_e32 vcc, 0, v3
	v_add_u32_e32 v5, 2, v5
	s_or_b64 s[20:21], vcc, s[20:21]
	v_add_u32_e32 v2, 0x128, v2
	s_andn2_b64 exec, exec, s[20:21]
	s_cbranch_execz .LBB46_156
.LBB46_152:                             ; =>This Inner Loop Header: Depth=1
	v_or_b32_e32 v6, 1, v5
	v_cmp_le_u32_e32 vcc, v6, v1
	v_cmp_le_u32_e64 s[16:17], v5, v1
	s_and_saveexec_b64 s[22:23], s[16:17]
	s_cbranch_execz .LBB46_154
; %bb.153:                              ;   in Loop: Header=BB46_152 Depth=1
	ds_write_b32 v2, v4
.LBB46_154:                             ;   in Loop: Header=BB46_152 Depth=1
	s_or_b64 exec, exec, s[22:23]
	s_and_saveexec_b64 s[16:17], vcc
	s_cbranch_execz .LBB46_151
; %bb.155:                              ;   in Loop: Header=BB46_152 Depth=1
	ds_write_b32 v2, v4 offset:148
	s_branch .LBB46_151
.LBB46_156:
	s_or_b64 exec, exec, s[18:19]
	s_movk_i32 s16, 0x7fff
	v_lshrrev_b16_e32 v1, 12, v8
	v_cmp_ne_u16_e32 vcc, s16, v8
	v_cndmask_b32_e32 v1, 8, v1, vcc
	v_mov_b32_e32 v2, 7
	v_and_b32_sdwa v2, v1, v2 dst_sel:DWORD dst_unused:UNUSED_PAD src0_sel:WORD_0 src1_sel:DWORD
	v_mad_u32_u24 v0, v2, 37, v0
	v_mov_b32_e32 v2, 2
	v_lshrrev_b32_sdwa v1, v2, v1 dst_sel:DWORD dst_unused:UNUSED_PAD src0_sel:DWORD src1_sel:WORD_0
	v_and_b32_e32 v1, 2, v1
	v_lshl_or_b32 v18, v0, 2, v1
	ds_read_u16 v19, v18
	s_waitcnt lgkmcnt(0)
	v_add_u16_e32 v0, 1, v19
	ds_write_b16 v18, v0
	s_waitcnt lgkmcnt(0)
	; wave barrier
	s_waitcnt lgkmcnt(0)
	ds_read2_b64 v[4:7], v16 offset1:1
	ds_read2_b64 v[0:3], v16 offset0:2 offset1:3
	s_waitcnt lgkmcnt(1)
	v_add_u32_e32 v20, v5, v4
	v_add3_u32 v20, v20, v6, v7
	s_waitcnt lgkmcnt(0)
	v_add3_u32 v20, v20, v0, v1
	v_add3_u32 v3, v20, v2, v3
	s_nop 1
	v_mov_b32_dpp v20, v3 row_shr:1 row_mask:0xf bank_mask:0xf
	v_cndmask_b32_e64 v20, v20, 0, s[14:15]
	v_add_u32_e32 v3, v20, v3
	s_nop 1
	v_mov_b32_dpp v20, v3 row_shr:2 row_mask:0xf bank_mask:0xf
	v_cndmask_b32_e64 v20, 0, v20, s[12:13]
	v_add_u32_e32 v3, v3, v20
	;; [unrolled: 4-line block ×4, first 2 shown]
	s_nop 1
	v_mov_b32_dpp v20, v3 row_bcast:15 row_mask:0xf bank_mask:0xf
	v_cndmask_b32_e64 v20, v20, 0, s[6:7]
	v_add_u32_e32 v3, v3, v20
	s_nop 1
	v_mov_b32_dpp v20, v3 row_bcast:31 row_mask:0xf bank_mask:0xf
	v_cndmask_b32_e64 v20, 0, v20, s[4:5]
	v_add_u32_e32 v3, v3, v20
	s_and_saveexec_b64 s[4:5], s[2:3]
	s_cbranch_execz .LBB46_158
; %bb.157:
	v_mov_b32_e32 v20, 0
	ds_write_b32 v20, v3 offset:1184
.LBB46_158:
	s_or_b64 exec, exec, s[4:5]
	ds_bpermute_b32 v3, v17, v3
	v_mov_b32_e32 v17, 0
	s_waitcnt lgkmcnt(0)
	; wave barrier
	s_waitcnt lgkmcnt(0)
	ds_read_b32 v17, v17 offset:1184
	v_cndmask_b32_e64 v3, v3, 0, s[0:1]
	s_waitcnt lgkmcnt(0)
	v_lshl_add_u32 v20, v17, 16, v3
	v_add_u32_e32 v21, v20, v4
	v_add_u32_e32 v4, v21, v5
	;; [unrolled: 1-line block ×7, first 2 shown]
	ds_write2_b64 v16, v[20:21], v[4:5] offset1:1
	ds_write2_b64 v16, v[6:7], v[0:1] offset0:2 offset1:3
	s_waitcnt lgkmcnt(0)
	; wave barrier
	s_waitcnt lgkmcnt(0)
	ds_read_u16 v0, v18
	v_and_b32_e32 v1, 0xffff, v19
	s_waitcnt lgkmcnt(0)
	; wave barrier
	s_waitcnt lgkmcnt(0)
	v_add_lshl_u32 v0, v0, v1, 1
	ds_write_b16 v0, v8
	s_waitcnt lgkmcnt(0)
	; wave barrier
	s_waitcnt lgkmcnt(0)
	ds_read_u16 v1, v15
	v_add_u32_e32 v0, v0, v0
	s_waitcnt lgkmcnt(0)
	; wave barrier
	s_waitcnt lgkmcnt(0)
	ds_write_b32 v0, v9
	s_waitcnt lgkmcnt(0)
	; wave barrier
.LBB46_159:
	s_waitcnt lgkmcnt(0)
	ds_read_b32 v0, v14
	v_mov_b32_e32 v2, 0xffff8000
	v_cmp_lt_i16_e32 vcc, -1, v1
	v_cndmask_b32_e64 v2, v2, -1, vcc
	v_xor_b32_e32 v1, v2, v1
	global_store_short v[10:11], v1, off
	s_waitcnt lgkmcnt(0)
	global_store_dword v[12:13], v0, off
	s_endpgm
	.section	.rodata,"a",@progbits
	.p2align	6, 0x0
	.amdhsa_kernel _Z21sort_key_value_kernelILj37ELj1ELb0ELb0E6__halfiEvPT3_PT4_jj
		.amdhsa_group_segment_fixed_size 1200
		.amdhsa_private_segment_fixed_size 0
		.amdhsa_kernarg_size 24
		.amdhsa_user_sgpr_count 6
		.amdhsa_user_sgpr_private_segment_buffer 1
		.amdhsa_user_sgpr_dispatch_ptr 0
		.amdhsa_user_sgpr_queue_ptr 0
		.amdhsa_user_sgpr_kernarg_segment_ptr 1
		.amdhsa_user_sgpr_dispatch_id 0
		.amdhsa_user_sgpr_flat_scratch_init 0
		.amdhsa_user_sgpr_kernarg_preload_length 0
		.amdhsa_user_sgpr_kernarg_preload_offset 0
		.amdhsa_user_sgpr_private_segment_size 0
		.amdhsa_uses_dynamic_stack 0
		.amdhsa_system_sgpr_private_segment_wavefront_offset 0
		.amdhsa_system_sgpr_workgroup_id_x 1
		.amdhsa_system_sgpr_workgroup_id_y 0
		.amdhsa_system_sgpr_workgroup_id_z 0
		.amdhsa_system_sgpr_workgroup_info 0
		.amdhsa_system_vgpr_workitem_id 0
		.amdhsa_next_free_vgpr 34
		.amdhsa_next_free_sgpr 42
		.amdhsa_accum_offset 36
		.amdhsa_reserve_vcc 1
		.amdhsa_reserve_flat_scratch 0
		.amdhsa_float_round_mode_32 0
		.amdhsa_float_round_mode_16_64 0
		.amdhsa_float_denorm_mode_32 3
		.amdhsa_float_denorm_mode_16_64 3
		.amdhsa_dx10_clamp 1
		.amdhsa_ieee_mode 1
		.amdhsa_fp16_overflow 0
		.amdhsa_tg_split 0
		.amdhsa_exception_fp_ieee_invalid_op 0
		.amdhsa_exception_fp_denorm_src 0
		.amdhsa_exception_fp_ieee_div_zero 0
		.amdhsa_exception_fp_ieee_overflow 0
		.amdhsa_exception_fp_ieee_underflow 0
		.amdhsa_exception_fp_ieee_inexact 0
		.amdhsa_exception_int_div_zero 0
	.end_amdhsa_kernel
	.section	.text._Z21sort_key_value_kernelILj37ELj1ELb0ELb0E6__halfiEvPT3_PT4_jj,"axG",@progbits,_Z21sort_key_value_kernelILj37ELj1ELb0ELb0E6__halfiEvPT3_PT4_jj,comdat
.Lfunc_end46:
	.size	_Z21sort_key_value_kernelILj37ELj1ELb0ELb0E6__halfiEvPT3_PT4_jj, .Lfunc_end46-_Z21sort_key_value_kernelILj37ELj1ELb0ELb0E6__halfiEvPT3_PT4_jj
                                        ; -- End function
	.section	.AMDGPU.csdata,"",@progbits
; Kernel info:
; codeLenInByte = 6032
; NumSgprs: 46
; NumVgprs: 34
; NumAgprs: 0
; TotalNumVgprs: 34
; ScratchSize: 0
; MemoryBound: 0
; FloatMode: 240
; IeeeMode: 1
; LDSByteSize: 1200 bytes/workgroup (compile time only)
; SGPRBlocks: 5
; VGPRBlocks: 4
; NumSGPRsForWavesPerEU: 46
; NumVGPRsForWavesPerEU: 34
; AccumOffset: 36
; Occupancy: 8
; WaveLimiterHint : 0
; COMPUTE_PGM_RSRC2:SCRATCH_EN: 0
; COMPUTE_PGM_RSRC2:USER_SGPR: 6
; COMPUTE_PGM_RSRC2:TRAP_HANDLER: 0
; COMPUTE_PGM_RSRC2:TGID_X_EN: 1
; COMPUTE_PGM_RSRC2:TGID_Y_EN: 0
; COMPUTE_PGM_RSRC2:TGID_Z_EN: 0
; COMPUTE_PGM_RSRC2:TIDIG_COMP_CNT: 0
; COMPUTE_PGM_RSRC3_GFX90A:ACCUM_OFFSET: 8
; COMPUTE_PGM_RSRC3_GFX90A:TG_SPLIT: 0
	.section	.text._Z21sort_key_value_kernelILj37ELj1ELb0ELb0E12hip_bfloat16iEvPT3_PT4_jj,"axG",@progbits,_Z21sort_key_value_kernelILj37ELj1ELb0ELb0E12hip_bfloat16iEvPT3_PT4_jj,comdat
	.protected	_Z21sort_key_value_kernelILj37ELj1ELb0ELb0E12hip_bfloat16iEvPT3_PT4_jj ; -- Begin function _Z21sort_key_value_kernelILj37ELj1ELb0ELb0E12hip_bfloat16iEvPT3_PT4_jj
	.globl	_Z21sort_key_value_kernelILj37ELj1ELb0ELb0E12hip_bfloat16iEvPT3_PT4_jj
	.p2align	8
	.type	_Z21sort_key_value_kernelILj37ELj1ELb0ELb0E12hip_bfloat16iEvPT3_PT4_jj,@function
_Z21sort_key_value_kernelILj37ELj1ELb0ELb0E12hip_bfloat16iEvPT3_PT4_jj: ; @_Z21sort_key_value_kernelILj37ELj1ELb0ELb0E12hip_bfloat16iEvPT3_PT4_jj
; %bb.0:
	s_load_dwordx4 s[0:3], s[4:5], 0x0
	s_load_dwordx2 s[28:29], s[4:5], 0x10
	s_mul_i32 s4, s6, 37
	s_mov_b32 s5, 0
	s_lshl_b64 s[6:7], s[4:5], 1
	s_waitcnt lgkmcnt(0)
	s_add_u32 s24, s0, s6
	s_addc_u32 s25, s1, s7
	v_lshlrev_b32_e32 v11, 1, v0
	global_load_ushort v1, v11, s[24:25]
	s_lshl_b64 s[0:1], s[4:5], 2
	s_add_u32 s26, s2, s0
	s_addc_u32 s27, s3, s1
	v_lshlrev_b32_e32 v13, 2, v0
	global_load_dword v19, v13, s[26:27]
	v_mbcnt_lo_u32_b32 v2, -1, 0
	s_cmp_eq_u32 s28, 0
	v_mbcnt_hi_u32_b32 v2, -1, v2
	s_cselect_b64 s[18:19], -1, 0
	s_cmp_eq_u32 s29, 16
	v_add_u32_e32 v5, -1, v2
	v_and_b32_e32 v6, 64, v2
	s_cselect_b64 s[20:21], -1, 0
	s_movk_i32 s0, 0x128
	v_cmp_lt_i32_e32 vcc, v5, v6
	s_and_b64 s[18:19], s[18:19], s[20:21]
	v_mov_b32_e32 v21, 0xffff8000
	s_movk_i32 s6, 0xffe2
	v_cmp_gt_u32_e64 s[16:17], s0, v0
	v_lshlrev_b32_e32 v16, 5, v0
	v_and_b32_e32 v3, 15, v2
	v_and_b32_e32 v4, 16, v2
	v_cmp_lt_u32_e64 s[4:5], 31, v2
	v_cmp_eq_u32_e64 s[0:1], 0, v2
	v_cndmask_b32_e32 v2, v5, v2, vcc
	s_and_b64 vcc, exec, s[18:19]
	v_mad_i32_i24 v15, v0, s6, v16
	v_lshlrev_b32_e32 v17, 2, v2
	v_cmp_eq_u32_e64 s[2:3], 36, v0
	v_mul_i32_i24_e32 v18, 0xffffffe2, v0
	v_cmp_eq_u32_e64 s[14:15], 0, v3
	v_cmp_lt_u32_e64 s[12:13], 1, v3
	v_cmp_lt_u32_e64 s[10:11], 3, v3
	;; [unrolled: 1-line block ×3, first 2 shown]
	v_cmp_eq_u32_e64 s[6:7], 0, v4
	v_add_u32_e32 v14, v15, v11
	v_mov_b32_e32 v23, s25
	v_mov_b32_e32 v22, s27
	s_waitcnt vmcnt(1)
	v_cmp_lt_i16_e64 s[18:19], -1, v1
	v_cndmask_b32_e64 v2, -1, v21, s[18:19]
	v_xor_b32_e32 v20, v2, v1
	s_cbranch_vccnz .LBB47_36
; %bb.1:
	s_movk_i32 s18, 0x103
	v_bfrev_b32_e32 v2, -4.0
	v_cmp_gt_u32_e32 vcc, s18, v0
	v_subb_co_u32_e64 v2, s[18:19], v2, v0, vcc
	s_mov_b32 s18, 0xbacf914d
	v_sub_u32_e32 v1, 0x103, v0
	v_mul_hi_u32 v2, v2, s18
	v_subb_co_u32_e64 v1, s[18:19], v1, v2, vcc
	v_lshrrev_b32_e32 v1, 1, v1
	v_add_u32_e32 v1, v1, v2
	v_lshrrev_b32_e32 v1, 5, v1
	v_addc_co_u32_e32 v10, vcc, 0, v1, vcc
	v_lshrrev_b32_e32 v1, 1, v10
	v_add_u32_e32 v2, 1, v1
	v_and_b32_e32 v3, 3, v2
	v_and_b32_e32 v24, 0xffffffc, v2
	v_mov_b32_e32 v2, 0x128
	v_mov_b32_e32 v1, v10
	v_cmp_lt_u32_e64 s[18:19], 5, v10
	v_cmp_ne_u32_e64 s[20:21], 0, v3
	v_lshl_add_u32 v25, v0, 2, v2
	v_mad_u32_u24 v12, v0, 34, v18
	s_movk_i32 s25, 0x94
	v_mul_u32_u24_e32 v27, 0x94, v3
	v_mov_b32_e32 v28, 0
	s_movk_i32 s27, 0x7fff
	s_waitcnt vmcnt(0)
	v_mov_b32_e32 v4, v19
	v_mov_b32_e32 v3, v20
	s_branch .LBB47_3
.LBB47_2:                               ;   in Loop: Header=BB47_3 Depth=1
	v_add_u32_e32 v4, v2, v2
	; wave barrier
	ds_write_b16 v2, v29
	s_waitcnt lgkmcnt(0)
	; wave barrier
	s_waitcnt lgkmcnt(0)
	ds_read_u16 v3, v15
	s_waitcnt lgkmcnt(0)
	; wave barrier
	s_waitcnt lgkmcnt(0)
	ds_write_b32 v4, v26
	s_waitcnt lgkmcnt(0)
	; wave barrier
	s_waitcnt lgkmcnt(0)
	ds_read_b32 v4, v14
	s_waitcnt lgkmcnt(0)
	; wave barrier
	s_waitcnt lgkmcnt(0)
	s_cbranch_execz .LBB47_35
.LBB47_3:                               ; =>This Loop Header: Depth=1
                                        ;     Child Loop BB47_7 Depth 2
                                        ;     Child Loop BB47_27 Depth 2
	v_mov_b32_e32 v29, v3
	v_mov_b32_e32 v26, v4
	s_and_saveexec_b64 s[30:31], s[16:17]
	s_cbranch_execz .LBB47_31
; %bb.4:                                ;   in Loop: Header=BB47_3 Depth=1
	v_mov_b32_e32 v5, 0
	s_and_saveexec_b64 s[34:35], s[18:19]
	s_cbranch_execz .LBB47_24
; %bb.5:                                ;   in Loop: Header=BB47_3 Depth=1
	s_mov_b32 s33, 0
	s_mov_b64 s[36:37], 0
	v_mov_b32_e32 v2, v24
	v_mov_b32_e32 v3, v25
	;; [unrolled: 1-line block ×3, first 2 shown]
	s_branch .LBB47_7
.LBB47_6:                               ;   in Loop: Header=BB47_7 Depth=2
	s_or_b64 exec, exec, s[22:23]
	v_add_u32_e32 v2, -4, v2
	s_add_i32 s22, s33, 8
	v_cmp_eq_u32_e32 vcc, 0, v2
	s_add_i32 s33, s40, 2
	v_add_u32_e32 v4, 0x4a0, v4
	v_add_u32_e32 v3, 0x4a0, v3
	s_or_b64 s[36:37], vcc, s[36:37]
	v_mov_b32_e32 v5, s22
	s_andn2_b64 exec, exec, s[36:37]
	s_cbranch_execz .LBB47_23
.LBB47_7:                               ;   Parent Loop BB47_3 Depth=1
                                        ; =>  This Inner Loop Header: Depth=2
	s_or_b32 s22, s33, 1
	v_cmp_le_u32_e32 vcc, s22, v1
	v_cmp_le_u32_e64 s[22:23], s33, v10
	s_and_saveexec_b64 s[38:39], s[22:23]
	s_cbranch_execz .LBB47_9
; %bb.8:                                ;   in Loop: Header=BB47_7 Depth=2
	ds_write_b32 v4, v28
.LBB47_9:                               ;   in Loop: Header=BB47_7 Depth=2
	s_or_b64 exec, exec, s[38:39]
	s_and_saveexec_b64 s[22:23], vcc
	s_cbranch_execz .LBB47_11
; %bb.10:                               ;   in Loop: Header=BB47_7 Depth=2
	ds_write_b32 v4, v28 offset:148
.LBB47_11:                              ;   in Loop: Header=BB47_7 Depth=2
	s_or_b64 exec, exec, s[22:23]
	s_add_i32 s40, s33, 2
	s_add_i32 s22, s33, 3
	v_cmp_le_u32_e32 vcc, s22, v1
	v_cmp_le_u32_e64 s[22:23], s40, v10
	s_and_saveexec_b64 s[38:39], s[22:23]
	s_cbranch_execz .LBB47_13
; %bb.12:                               ;   in Loop: Header=BB47_7 Depth=2
	ds_write_b32 v3, v28
.LBB47_13:                              ;   in Loop: Header=BB47_7 Depth=2
	s_or_b64 exec, exec, s[38:39]
	s_and_saveexec_b64 s[22:23], vcc
	s_cbranch_execz .LBB47_15
; %bb.14:                               ;   in Loop: Header=BB47_7 Depth=2
	ds_write_b32 v3, v28 offset:148
.LBB47_15:                              ;   in Loop: Header=BB47_7 Depth=2
	s_or_b64 exec, exec, s[22:23]
	s_add_i32 s41, s40, 2
	s_add_i32 s40, s40, 3
	v_cmp_le_u32_e32 vcc, s40, v1
	v_cmp_le_u32_e64 s[22:23], s41, v10
	s_and_saveexec_b64 s[38:39], s[22:23]
	s_cbranch_execz .LBB47_17
; %bb.16:                               ;   in Loop: Header=BB47_7 Depth=2
	ds_write_b32 v3, v28 offset:296
.LBB47_17:                              ;   in Loop: Header=BB47_7 Depth=2
	s_or_b64 exec, exec, s[38:39]
	s_and_saveexec_b64 s[22:23], vcc
	s_cbranch_execz .LBB47_19
; %bb.18:                               ;   in Loop: Header=BB47_7 Depth=2
	ds_write_b32 v3, v28 offset:444
.LBB47_19:                              ;   in Loop: Header=BB47_7 Depth=2
	s_or_b64 exec, exec, s[22:23]
	s_add_i32 s40, s41, 2
	s_add_i32 s41, s41, 3
	v_cmp_le_u32_e32 vcc, s41, v1
	v_cmp_le_u32_e64 s[22:23], s40, v10
	s_and_saveexec_b64 s[38:39], s[22:23]
	s_cbranch_execz .LBB47_21
; %bb.20:                               ;   in Loop: Header=BB47_7 Depth=2
	ds_write_b32 v3, v28 offset:592
.LBB47_21:                              ;   in Loop: Header=BB47_7 Depth=2
	s_or_b64 exec, exec, s[38:39]
	s_and_saveexec_b64 s[22:23], vcc
	s_cbranch_execz .LBB47_6
; %bb.22:                               ;   in Loop: Header=BB47_7 Depth=2
	ds_write_b32 v3, v28 offset:740
	s_branch .LBB47_6
.LBB47_23:                              ;   in Loop: Header=BB47_3 Depth=1
	s_or_b64 exec, exec, s[36:37]
.LBB47_24:                              ;   in Loop: Header=BB47_3 Depth=1
	s_or_b64 exec, exec, s[34:35]
	s_and_b64 exec, exec, s[20:21]
	s_cbranch_execz .LBB47_31
; %bb.25:                               ;   in Loop: Header=BB47_3 Depth=1
	v_mad_u64_u32 v[2:3], s[22:23], v5, s25, v[12:13]
	s_mov_b64 s[34:35], 0
	v_mov_b32_e32 v3, v27
	s_branch .LBB47_27
.LBB47_26:                              ;   in Loop: Header=BB47_27 Depth=2
	s_or_b64 exec, exec, s[22:23]
	v_add_u32_e32 v3, 0xffffff6c, v3
	v_cmp_eq_u32_e32 vcc, 0, v3
	v_add_u32_e32 v5, 2, v5
	s_or_b64 s[34:35], vcc, s[34:35]
	v_add_u32_e32 v2, 0x128, v2
	s_andn2_b64 exec, exec, s[34:35]
	s_cbranch_execz .LBB47_31
.LBB47_27:                              ;   Parent Loop BB47_3 Depth=1
                                        ; =>  This Inner Loop Header: Depth=2
	v_or_b32_e32 v4, 1, v5
	v_cmp_le_u32_e32 vcc, v4, v1
	v_cmp_le_u32_e64 s[22:23], v5, v10
	s_and_saveexec_b64 s[36:37], s[22:23]
	s_cbranch_execz .LBB47_29
; %bb.28:                               ;   in Loop: Header=BB47_27 Depth=2
	ds_write_b32 v2, v28
.LBB47_29:                              ;   in Loop: Header=BB47_27 Depth=2
	s_or_b64 exec, exec, s[36:37]
	s_and_saveexec_b64 s[22:23], vcc
	s_cbranch_execz .LBB47_26
; %bb.30:                               ;   in Loop: Header=BB47_27 Depth=2
	ds_write_b32 v2, v28 offset:148
	s_branch .LBB47_26
.LBB47_31:                              ;   in Loop: Header=BB47_3 Depth=1
	s_or_b64 exec, exec, s[30:31]
	v_cmp_ne_u16_e32 vcc, s27, v29
	s_sub_i32 s22, s29, s28
	v_cndmask_b32_e32 v2, v21, v29, vcc
	s_min_u32 s22, s22, 4
	v_lshrrev_b32_sdwa v2, s28, v2 dst_sel:DWORD dst_unused:UNUSED_PAD src0_sel:DWORD src1_sel:WORD_0
	v_bfe_u32 v2, v2, 0, s22
	v_and_b32_e32 v3, 7, v2
	v_mul_u32_u24_e32 v3, 37, v3
	v_lshrrev_b32_e32 v2, 3, v2
	v_add_lshl_u32 v3, v3, v0, 1
	v_add_lshl_u32 v30, v3, v2, 1
	ds_read_u16 v31, v30
	s_waitcnt lgkmcnt(0)
	v_add_u16_e32 v2, 1, v31
	ds_write_b16 v30, v2
	s_waitcnt lgkmcnt(0)
	; wave barrier
	s_waitcnt lgkmcnt(0)
	ds_read2_b64 v[6:9], v16 offset1:1
	ds_read2_b64 v[2:5], v16 offset0:2 offset1:3
	s_waitcnt lgkmcnt(1)
	v_add_u32_e32 v32, v7, v6
	v_add3_u32 v32, v32, v8, v9
	s_waitcnt lgkmcnt(0)
	v_add3_u32 v32, v32, v2, v3
	v_add3_u32 v5, v32, v4, v5
	s_nop 1
	v_mov_b32_dpp v32, v5 row_shr:1 row_mask:0xf bank_mask:0xf
	v_cndmask_b32_e64 v32, v32, 0, s[14:15]
	v_add_u32_e32 v5, v32, v5
	s_nop 1
	v_mov_b32_dpp v32, v5 row_shr:2 row_mask:0xf bank_mask:0xf
	v_cndmask_b32_e64 v32, 0, v32, s[12:13]
	v_add_u32_e32 v5, v5, v32
	;; [unrolled: 4-line block ×4, first 2 shown]
	s_nop 1
	v_mov_b32_dpp v32, v5 row_bcast:15 row_mask:0xf bank_mask:0xf
	v_cndmask_b32_e64 v32, v32, 0, s[6:7]
	v_add_u32_e32 v5, v5, v32
	s_nop 1
	v_mov_b32_dpp v32, v5 row_bcast:31 row_mask:0xf bank_mask:0xf
	v_cndmask_b32_e64 v32, 0, v32, s[4:5]
	v_add_u32_e32 v5, v5, v32
	s_and_saveexec_b64 s[22:23], s[2:3]
	s_cbranch_execz .LBB47_33
; %bb.32:                               ;   in Loop: Header=BB47_3 Depth=1
	ds_write_b32 v28, v5 offset:1184
.LBB47_33:                              ;   in Loop: Header=BB47_3 Depth=1
	s_or_b64 exec, exec, s[22:23]
	ds_bpermute_b32 v5, v17, v5
	s_waitcnt lgkmcnt(0)
	; wave barrier
	s_waitcnt lgkmcnt(0)
	ds_read_b32 v32, v28 offset:1184
	s_add_i32 s28, s28, 4
	v_cndmask_b32_e64 v5, v5, 0, s[0:1]
	s_cmp_ge_u32 s28, s29
	s_waitcnt lgkmcnt(0)
	v_lshl_add_u32 v32, v32, 16, v5
	v_add_u32_e32 v33, v32, v6
	v_add_u32_e32 v6, v33, v7
	;; [unrolled: 1-line block ×7, first 2 shown]
	ds_write2_b64 v16, v[32:33], v[6:7] offset1:1
	ds_write2_b64 v16, v[8:9], v[2:3] offset0:2 offset1:3
	s_waitcnt lgkmcnt(0)
	; wave barrier
	s_waitcnt lgkmcnt(0)
	ds_read_u16 v2, v30
	v_and_b32_e32 v3, 0xffff, v31
	s_waitcnt lgkmcnt(0)
	v_add_lshl_u32 v2, v2, v3, 1
	s_cbranch_scc0 .LBB47_2
; %bb.34:
                                        ; implicit-def: $vgpr3
                                        ; implicit-def: $vgpr4
.LBB47_35:
	; wave barrier
	ds_write_b16 v2, v29
	s_waitcnt lgkmcnt(0)
	; wave barrier
	s_waitcnt lgkmcnt(0)
	ds_read_u16 v1, v15
	v_add_u32_e32 v2, v2, v2
	s_mov_b64 s[18:19], 0
	s_waitcnt lgkmcnt(0)
	; wave barrier
	s_waitcnt lgkmcnt(0)
	ds_write_b32 v2, v26
	s_waitcnt lgkmcnt(0)
	; wave barrier
	s_branch .LBB47_37
.LBB47_36:
	s_mov_b64 s[18:19], -1
                                        ; implicit-def: $vgpr1
.LBB47_37:
	v_add_co_u32_e32 v10, vcc, s24, v11
	v_addc_co_u32_e32 v11, vcc, 0, v23, vcc
	v_add_co_u32_e32 v12, vcc, s26, v13
	v_addc_co_u32_e32 v13, vcc, 0, v22, vcc
	s_and_b64 vcc, exec, s[18:19]
	s_cbranch_vccz .LBB47_159
; %bb.38:
	s_and_saveexec_b64 s[20:21], s[16:17]
	s_cbranch_execz .LBB47_66
; %bb.39:
	s_movk_i32 s18, 0x103
	v_bfrev_b32_e32 v2, -4.0
	v_cmp_gt_u32_e32 vcc, s18, v0
	v_subb_co_u32_e64 v2, s[18:19], v2, v0, vcc
	s_mov_b32 s18, 0xbacf914d
	v_sub_u32_e32 v1, 0x103, v0
	v_mul_hi_u32 v2, v2, s18
	v_subb_co_u32_e64 v1, s[18:19], v1, v2, vcc
	v_lshrrev_b32_e32 v1, 1, v1
	v_add_u32_e32 v1, v1, v2
	v_lshrrev_b32_e32 v1, 5, v1
	v_addc_co_u32_e32 v1, vcc, 0, v1, vcc
	v_lshrrev_b32_e32 v2, 1, v1
	s_mov_b32 s28, 0
	v_mov_b32_e32 v7, 0
	v_add_u32_e32 v2, 1, v2
	v_cmp_lt_u32_e32 vcc, 5, v1
	s_and_saveexec_b64 s[22:23], vcc
	s_cbranch_execz .LBB47_59
; %bb.40:
	v_mov_b32_e32 v4, 0x128
	v_and_b32_e32 v3, 0xffffffc, v2
	v_lshl_add_u32 v4, v0, 2, v4
	s_mov_b64 s[24:25], 0
	v_mov_b32_e32 v5, 0
	v_mov_b32_e32 v6, v14
	s_branch .LBB47_42
.LBB47_41:                              ;   in Loop: Header=BB47_42 Depth=1
	s_or_b64 exec, exec, s[18:19]
	v_add_u32_e32 v3, -4, v3
	s_add_i32 s18, s28, 8
	v_cmp_eq_u32_e32 vcc, 0, v3
	s_add_i32 s28, s29, 2
	v_add_u32_e32 v6, 0x4a0, v6
	v_add_u32_e32 v4, 0x4a0, v4
	s_or_b64 s[24:25], vcc, s[24:25]
	v_mov_b32_e32 v7, s18
	s_andn2_b64 exec, exec, s[24:25]
	s_cbranch_execz .LBB47_58
.LBB47_42:                              ; =>This Inner Loop Header: Depth=1
	s_or_b32 s18, s28, 1
	v_cmp_le_u32_e32 vcc, s18, v1
	v_cmp_le_u32_e64 s[18:19], s28, v1
	s_and_saveexec_b64 s[26:27], s[18:19]
	s_cbranch_execz .LBB47_44
; %bb.43:                               ;   in Loop: Header=BB47_42 Depth=1
	ds_write_b32 v6, v5
.LBB47_44:                              ;   in Loop: Header=BB47_42 Depth=1
	s_or_b64 exec, exec, s[26:27]
	s_and_saveexec_b64 s[18:19], vcc
	s_cbranch_execz .LBB47_46
; %bb.45:                               ;   in Loop: Header=BB47_42 Depth=1
	ds_write_b32 v6, v5 offset:148
.LBB47_46:                              ;   in Loop: Header=BB47_42 Depth=1
	s_or_b64 exec, exec, s[18:19]
	s_add_i32 s29, s28, 2
	s_add_i32 s18, s28, 3
	v_cmp_le_u32_e32 vcc, s18, v1
	v_cmp_le_u32_e64 s[18:19], s29, v1
	s_and_saveexec_b64 s[26:27], s[18:19]
	s_cbranch_execz .LBB47_48
; %bb.47:                               ;   in Loop: Header=BB47_42 Depth=1
	ds_write_b32 v4, v5
.LBB47_48:                              ;   in Loop: Header=BB47_42 Depth=1
	s_or_b64 exec, exec, s[26:27]
	s_and_saveexec_b64 s[18:19], vcc
	s_cbranch_execz .LBB47_50
; %bb.49:                               ;   in Loop: Header=BB47_42 Depth=1
	ds_write_b32 v4, v5 offset:148
.LBB47_50:                              ;   in Loop: Header=BB47_42 Depth=1
	s_or_b64 exec, exec, s[18:19]
	s_add_i32 s30, s29, 2
	s_add_i32 s29, s29, 3
	v_cmp_le_u32_e32 vcc, s29, v1
	v_cmp_le_u32_e64 s[18:19], s30, v1
	s_and_saveexec_b64 s[26:27], s[18:19]
	s_cbranch_execz .LBB47_52
; %bb.51:                               ;   in Loop: Header=BB47_42 Depth=1
	ds_write_b32 v4, v5 offset:296
.LBB47_52:                              ;   in Loop: Header=BB47_42 Depth=1
	s_or_b64 exec, exec, s[26:27]
	s_and_saveexec_b64 s[18:19], vcc
	s_cbranch_execz .LBB47_54
; %bb.53:                               ;   in Loop: Header=BB47_42 Depth=1
	ds_write_b32 v4, v5 offset:444
.LBB47_54:                              ;   in Loop: Header=BB47_42 Depth=1
	s_or_b64 exec, exec, s[18:19]
	s_add_i32 s29, s30, 2
	s_add_i32 s30, s30, 3
	v_cmp_le_u32_e32 vcc, s30, v1
	v_cmp_le_u32_e64 s[18:19], s29, v1
	s_and_saveexec_b64 s[26:27], s[18:19]
	s_cbranch_execz .LBB47_56
; %bb.55:                               ;   in Loop: Header=BB47_42 Depth=1
	ds_write_b32 v4, v5 offset:592
.LBB47_56:                              ;   in Loop: Header=BB47_42 Depth=1
	s_or_b64 exec, exec, s[26:27]
	s_and_saveexec_b64 s[18:19], vcc
	s_cbranch_execz .LBB47_41
; %bb.57:                               ;   in Loop: Header=BB47_42 Depth=1
	ds_write_b32 v4, v5 offset:740
	s_branch .LBB47_41
.LBB47_58:
	s_or_b64 exec, exec, s[24:25]
.LBB47_59:
	s_or_b64 exec, exec, s[22:23]
	v_and_b32_e32 v3, 3, v2
	v_cmp_ne_u32_e32 vcc, 0, v3
	s_and_b64 exec, exec, vcc
	s_cbranch_execz .LBB47_66
; %bb.60:
	s_movk_i32 s18, 0x94
	v_mul_lo_u32 v2, v7, s18
	v_mul_u32_u24_e32 v4, 34, v0
	v_add3_u32 v2, v18, v2, v4
	v_mul_u32_u24_e32 v3, 0x94, v3
	s_mov_b64 s[22:23], 0
	v_mov_b32_e32 v4, 0
	s_branch .LBB47_62
.LBB47_61:                              ;   in Loop: Header=BB47_62 Depth=1
	s_or_b64 exec, exec, s[18:19]
	v_add_u32_e32 v3, 0xffffff6c, v3
	v_cmp_eq_u32_e32 vcc, 0, v3
	v_add_u32_e32 v7, 2, v7
	s_or_b64 s[22:23], vcc, s[22:23]
	v_add_u32_e32 v2, 0x128, v2
	s_andn2_b64 exec, exec, s[22:23]
	s_cbranch_execz .LBB47_66
.LBB47_62:                              ; =>This Inner Loop Header: Depth=1
	v_or_b32_e32 v5, 1, v7
	v_cmp_le_u32_e32 vcc, v5, v1
	v_cmp_le_u32_e64 s[18:19], v7, v1
	s_and_saveexec_b64 s[24:25], s[18:19]
	s_cbranch_execz .LBB47_64
; %bb.63:                               ;   in Loop: Header=BB47_62 Depth=1
	ds_write_b32 v2, v4
.LBB47_64:                              ;   in Loop: Header=BB47_62 Depth=1
	s_or_b64 exec, exec, s[24:25]
	s_and_saveexec_b64 s[18:19], vcc
	s_cbranch_execz .LBB47_61
; %bb.65:                               ;   in Loop: Header=BB47_62 Depth=1
	ds_write_b32 v2, v4 offset:148
	s_branch .LBB47_61
.LBB47_66:
	s_or_b64 exec, exec, s[20:21]
	s_movk_i32 s18, 0x7fff
	v_mov_b32_e32 v1, 0xffff8000
	v_cmp_ne_u16_e32 vcc, s18, v20
	v_cndmask_b32_e32 v1, v1, v20, vcc
	v_mov_b32_e32 v2, 7
	v_mov_b32_e32 v3, 2
	v_and_b32_sdwa v2, v1, v2 dst_sel:DWORD dst_unused:UNUSED_PAD src0_sel:WORD_0 src1_sel:DWORD
	v_lshrrev_b32_sdwa v1, v3, v1 dst_sel:DWORD dst_unused:UNUSED_PAD src0_sel:DWORD src1_sel:WORD_0
	v_mad_u32_u24 v2, v2, 37, v0
	v_and_b32_e32 v1, 2, v1
	v_lshl_or_b32 v1, v2, 2, v1
	ds_read_u16 v21, v1
	s_waitcnt lgkmcnt(0)
	v_add_u16_e32 v2, 1, v21
	ds_write_b16 v1, v2
	s_waitcnt lgkmcnt(0)
	; wave barrier
	s_waitcnt lgkmcnt(0)
	ds_read2_b64 v[6:9], v16 offset1:1
	ds_read2_b64 v[2:5], v16 offset0:2 offset1:3
	s_waitcnt lgkmcnt(1)
	v_add_u32_e32 v22, v7, v6
	v_add3_u32 v22, v22, v8, v9
	s_waitcnt lgkmcnt(0)
	v_add3_u32 v22, v22, v2, v3
	v_add3_u32 v5, v22, v4, v5
	s_nop 1
	v_mov_b32_dpp v22, v5 row_shr:1 row_mask:0xf bank_mask:0xf
	v_cndmask_b32_e64 v22, v22, 0, s[14:15]
	v_add_u32_e32 v5, v22, v5
	s_nop 1
	v_mov_b32_dpp v22, v5 row_shr:2 row_mask:0xf bank_mask:0xf
	v_cndmask_b32_e64 v22, 0, v22, s[12:13]
	v_add_u32_e32 v5, v5, v22
	;; [unrolled: 4-line block ×4, first 2 shown]
	s_nop 1
	v_mov_b32_dpp v22, v5 row_bcast:15 row_mask:0xf bank_mask:0xf
	v_cndmask_b32_e64 v22, v22, 0, s[6:7]
	v_add_u32_e32 v5, v5, v22
	s_nop 1
	v_mov_b32_dpp v22, v5 row_bcast:31 row_mask:0xf bank_mask:0xf
	v_cndmask_b32_e64 v22, 0, v22, s[4:5]
	v_add_u32_e32 v5, v5, v22
	s_and_saveexec_b64 s[18:19], s[2:3]
	s_cbranch_execz .LBB47_68
; %bb.67:
	v_mov_b32_e32 v22, 0
	ds_write_b32 v22, v5 offset:1184
.LBB47_68:
	s_or_b64 exec, exec, s[18:19]
	ds_bpermute_b32 v22, v17, v5
	v_mov_b32_e32 v5, 0
	s_waitcnt lgkmcnt(0)
	; wave barrier
	s_waitcnt lgkmcnt(0)
	ds_read_b32 v23, v5 offset:1184
	v_cndmask_b32_e64 v22, v22, 0, s[0:1]
	s_waitcnt lgkmcnt(0)
	v_lshl_add_u32 v22, v23, 16, v22
	v_add_u32_e32 v23, v22, v6
	v_add_u32_e32 v6, v23, v7
	;; [unrolled: 1-line block ×7, first 2 shown]
	ds_write2_b64 v16, v[22:23], v[6:7] offset1:1
	ds_write2_b64 v16, v[8:9], v[2:3] offset0:2 offset1:3
	s_waitcnt lgkmcnt(0)
	; wave barrier
	s_waitcnt lgkmcnt(0)
	ds_read_u16 v1, v1
	v_and_b32_e32 v2, 0xffff, v21
	s_waitcnt lgkmcnt(0)
	; wave barrier
	s_waitcnt lgkmcnt(0)
	v_add_lshl_u32 v2, v1, v2, 1
	ds_write_b16 v2, v20
	v_add_u32_e32 v2, v2, v2
	s_waitcnt lgkmcnt(0)
	; wave barrier
	s_waitcnt lgkmcnt(0)
	ds_read_u16 v1, v15
	s_waitcnt lgkmcnt(0)
	; wave barrier
	s_waitcnt vmcnt(0) lgkmcnt(0)
	ds_write_b32 v2, v19
	s_waitcnt lgkmcnt(0)
	; wave barrier
	s_waitcnt lgkmcnt(0)
	ds_read_b32 v19, v14
	s_waitcnt lgkmcnt(0)
	; wave barrier
	s_waitcnt lgkmcnt(0)
	s_and_saveexec_b64 s[20:21], s[16:17]
	s_cbranch_execz .LBB47_96
; %bb.69:
	s_movk_i32 s18, 0x103
	v_bfrev_b32_e32 v3, -4.0
	v_cmp_gt_u32_e32 vcc, s18, v0
	v_subb_co_u32_e64 v3, s[18:19], v3, v0, vcc
	s_mov_b32 s18, 0xbacf914d
	v_sub_u32_e32 v2, 0x103, v0
	v_mul_hi_u32 v3, v3, s18
	v_subb_co_u32_e64 v2, s[18:19], v2, v3, vcc
	v_lshrrev_b32_e32 v2, 1, v2
	v_add_u32_e32 v2, v2, v3
	v_lshrrev_b32_e32 v2, 5, v2
	v_addc_co_u32_e32 v2, vcc, 0, v2, vcc
	v_lshrrev_b32_e32 v3, 1, v2
	s_mov_b32 s28, 0
	v_add_u32_e32 v3, 1, v3
	v_cmp_lt_u32_e32 vcc, 5, v2
	s_and_saveexec_b64 s[22:23], vcc
	s_cbranch_execz .LBB47_89
; %bb.70:
	v_mov_b32_e32 v5, 0x128
	v_and_b32_e32 v4, 0xffffffc, v3
	v_lshl_add_u32 v6, v0, 2, v5
	s_mov_b64 s[24:25], 0
	v_mov_b32_e32 v7, 0
	v_mov_b32_e32 v8, v14
	s_branch .LBB47_72
.LBB47_71:                              ;   in Loop: Header=BB47_72 Depth=1
	s_or_b64 exec, exec, s[18:19]
	v_add_u32_e32 v4, -4, v4
	s_add_i32 s18, s28, 8
	v_cmp_eq_u32_e32 vcc, 0, v4
	s_add_i32 s28, s29, 2
	v_add_u32_e32 v8, 0x4a0, v8
	v_add_u32_e32 v6, 0x4a0, v6
	s_or_b64 s[24:25], vcc, s[24:25]
	v_mov_b32_e32 v5, s18
	s_andn2_b64 exec, exec, s[24:25]
	s_cbranch_execz .LBB47_88
.LBB47_72:                              ; =>This Inner Loop Header: Depth=1
	s_or_b32 s18, s28, 1
	v_cmp_le_u32_e32 vcc, s18, v2
	v_cmp_le_u32_e64 s[18:19], s28, v2
	s_and_saveexec_b64 s[26:27], s[18:19]
	s_cbranch_execz .LBB47_74
; %bb.73:                               ;   in Loop: Header=BB47_72 Depth=1
	ds_write_b32 v8, v7
.LBB47_74:                              ;   in Loop: Header=BB47_72 Depth=1
	s_or_b64 exec, exec, s[26:27]
	s_and_saveexec_b64 s[18:19], vcc
	s_cbranch_execz .LBB47_76
; %bb.75:                               ;   in Loop: Header=BB47_72 Depth=1
	ds_write_b32 v8, v7 offset:148
.LBB47_76:                              ;   in Loop: Header=BB47_72 Depth=1
	s_or_b64 exec, exec, s[18:19]
	s_add_i32 s29, s28, 2
	s_add_i32 s18, s28, 3
	v_cmp_le_u32_e32 vcc, s18, v2
	v_cmp_le_u32_e64 s[18:19], s29, v2
	s_and_saveexec_b64 s[26:27], s[18:19]
	s_cbranch_execz .LBB47_78
; %bb.77:                               ;   in Loop: Header=BB47_72 Depth=1
	ds_write_b32 v6, v7
.LBB47_78:                              ;   in Loop: Header=BB47_72 Depth=1
	s_or_b64 exec, exec, s[26:27]
	s_and_saveexec_b64 s[18:19], vcc
	s_cbranch_execz .LBB47_80
; %bb.79:                               ;   in Loop: Header=BB47_72 Depth=1
	ds_write_b32 v6, v7 offset:148
.LBB47_80:                              ;   in Loop: Header=BB47_72 Depth=1
	s_or_b64 exec, exec, s[18:19]
	s_add_i32 s30, s29, 2
	s_add_i32 s29, s29, 3
	v_cmp_le_u32_e32 vcc, s29, v2
	v_cmp_le_u32_e64 s[18:19], s30, v2
	s_and_saveexec_b64 s[26:27], s[18:19]
	s_cbranch_execz .LBB47_82
; %bb.81:                               ;   in Loop: Header=BB47_72 Depth=1
	ds_write_b32 v6, v7 offset:296
.LBB47_82:                              ;   in Loop: Header=BB47_72 Depth=1
	s_or_b64 exec, exec, s[26:27]
	s_and_saveexec_b64 s[18:19], vcc
	s_cbranch_execz .LBB47_84
; %bb.83:                               ;   in Loop: Header=BB47_72 Depth=1
	ds_write_b32 v6, v7 offset:444
.LBB47_84:                              ;   in Loop: Header=BB47_72 Depth=1
	s_or_b64 exec, exec, s[18:19]
	s_add_i32 s29, s30, 2
	s_add_i32 s30, s30, 3
	v_cmp_le_u32_e32 vcc, s30, v2
	v_cmp_le_u32_e64 s[18:19], s29, v2
	s_and_saveexec_b64 s[26:27], s[18:19]
	s_cbranch_execz .LBB47_86
; %bb.85:                               ;   in Loop: Header=BB47_72 Depth=1
	ds_write_b32 v6, v7 offset:592
.LBB47_86:                              ;   in Loop: Header=BB47_72 Depth=1
	s_or_b64 exec, exec, s[26:27]
	s_and_saveexec_b64 s[18:19], vcc
	s_cbranch_execz .LBB47_71
; %bb.87:                               ;   in Loop: Header=BB47_72 Depth=1
	ds_write_b32 v6, v7 offset:740
	s_branch .LBB47_71
.LBB47_88:
	s_or_b64 exec, exec, s[24:25]
.LBB47_89:
	s_or_b64 exec, exec, s[22:23]
	v_and_b32_e32 v4, 3, v3
	v_cmp_ne_u32_e32 vcc, 0, v4
	s_and_b64 exec, exec, vcc
	s_cbranch_execz .LBB47_96
; %bb.90:
	s_movk_i32 s18, 0x94
	v_mul_lo_u32 v3, v5, s18
	v_mul_u32_u24_e32 v6, 34, v0
	v_add3_u32 v3, v18, v3, v6
	v_mul_u32_u24_e32 v4, 0x94, v4
	s_mov_b64 s[22:23], 0
	v_mov_b32_e32 v6, 0
	s_branch .LBB47_92
.LBB47_91:                              ;   in Loop: Header=BB47_92 Depth=1
	s_or_b64 exec, exec, s[18:19]
	v_add_u32_e32 v4, 0xffffff6c, v4
	v_cmp_eq_u32_e32 vcc, 0, v4
	v_add_u32_e32 v5, 2, v5
	s_or_b64 s[22:23], vcc, s[22:23]
	v_add_u32_e32 v3, 0x128, v3
	s_andn2_b64 exec, exec, s[22:23]
	s_cbranch_execz .LBB47_96
.LBB47_92:                              ; =>This Inner Loop Header: Depth=1
	v_or_b32_e32 v7, 1, v5
	v_cmp_le_u32_e32 vcc, v7, v2
	v_cmp_le_u32_e64 s[18:19], v5, v2
	s_and_saveexec_b64 s[24:25], s[18:19]
	s_cbranch_execz .LBB47_94
; %bb.93:                               ;   in Loop: Header=BB47_92 Depth=1
	ds_write_b32 v3, v6
.LBB47_94:                              ;   in Loop: Header=BB47_92 Depth=1
	s_or_b64 exec, exec, s[24:25]
	s_and_saveexec_b64 s[18:19], vcc
	s_cbranch_execz .LBB47_91
; %bb.95:                               ;   in Loop: Header=BB47_92 Depth=1
	ds_write_b32 v3, v6 offset:148
	s_branch .LBB47_91
.LBB47_96:
	s_or_b64 exec, exec, s[20:21]
	s_movk_i32 s18, 0x7fff
	v_lshrrev_b16_e32 v2, 4, v1
	v_mov_b32_e32 v3, 0x800
	v_cmp_ne_u16_e32 vcc, s18, v1
	v_cndmask_b32_e32 v2, v3, v2, vcc
	v_mov_b32_e32 v3, 7
	v_mov_b32_e32 v4, 2
	v_and_b32_sdwa v3, v2, v3 dst_sel:DWORD dst_unused:UNUSED_PAD src0_sel:WORD_0 src1_sel:DWORD
	v_lshrrev_b32_sdwa v2, v4, v2 dst_sel:DWORD dst_unused:UNUSED_PAD src0_sel:DWORD src1_sel:WORD_0
	v_mad_u32_u24 v3, v3, 37, v0
	v_and_b32_e32 v2, 2, v2
	v_lshl_or_b32 v20, v3, 2, v2
	ds_read_u16 v21, v20
	s_waitcnt lgkmcnt(0)
	v_add_u16_e32 v2, 1, v21
	ds_write_b16 v20, v2
	s_waitcnt lgkmcnt(0)
	; wave barrier
	s_waitcnt lgkmcnt(0)
	ds_read2_b64 v[6:9], v16 offset1:1
	ds_read2_b64 v[2:5], v16 offset0:2 offset1:3
	s_waitcnt lgkmcnt(1)
	v_add_u32_e32 v22, v7, v6
	v_add3_u32 v22, v22, v8, v9
	s_waitcnt lgkmcnt(0)
	v_add3_u32 v22, v22, v2, v3
	v_add3_u32 v5, v22, v4, v5
	s_nop 1
	v_mov_b32_dpp v22, v5 row_shr:1 row_mask:0xf bank_mask:0xf
	v_cndmask_b32_e64 v22, v22, 0, s[14:15]
	v_add_u32_e32 v5, v22, v5
	s_nop 1
	v_mov_b32_dpp v22, v5 row_shr:2 row_mask:0xf bank_mask:0xf
	v_cndmask_b32_e64 v22, 0, v22, s[12:13]
	v_add_u32_e32 v5, v5, v22
	s_nop 1
	v_mov_b32_dpp v22, v5 row_shr:4 row_mask:0xf bank_mask:0xf
	v_cndmask_b32_e64 v22, 0, v22, s[10:11]
	v_add_u32_e32 v5, v5, v22
	s_nop 1
	v_mov_b32_dpp v22, v5 row_shr:8 row_mask:0xf bank_mask:0xf
	v_cndmask_b32_e64 v22, 0, v22, s[8:9]
	v_add_u32_e32 v5, v5, v22
	s_nop 1
	v_mov_b32_dpp v22, v5 row_bcast:15 row_mask:0xf bank_mask:0xf
	v_cndmask_b32_e64 v22, v22, 0, s[6:7]
	v_add_u32_e32 v5, v5, v22
	s_nop 1
	v_mov_b32_dpp v22, v5 row_bcast:31 row_mask:0xf bank_mask:0xf
	v_cndmask_b32_e64 v22, 0, v22, s[4:5]
	v_add_u32_e32 v5, v5, v22
	s_and_saveexec_b64 s[18:19], s[2:3]
	s_cbranch_execz .LBB47_98
; %bb.97:
	v_mov_b32_e32 v22, 0
	ds_write_b32 v22, v5 offset:1184
.LBB47_98:
	s_or_b64 exec, exec, s[18:19]
	ds_bpermute_b32 v22, v17, v5
	v_mov_b32_e32 v5, 0
	s_waitcnt lgkmcnt(0)
	; wave barrier
	s_waitcnt lgkmcnt(0)
	ds_read_b32 v23, v5 offset:1184
	v_cndmask_b32_e64 v22, v22, 0, s[0:1]
	s_waitcnt lgkmcnt(0)
	v_lshl_add_u32 v22, v23, 16, v22
	v_add_u32_e32 v23, v22, v6
	v_add_u32_e32 v6, v23, v7
	;; [unrolled: 1-line block ×7, first 2 shown]
	ds_write2_b64 v16, v[22:23], v[6:7] offset1:1
	ds_write2_b64 v16, v[8:9], v[2:3] offset0:2 offset1:3
	s_waitcnt lgkmcnt(0)
	; wave barrier
	s_waitcnt lgkmcnt(0)
	ds_read_u16 v2, v20
	v_and_b32_e32 v3, 0xffff, v21
	s_waitcnt lgkmcnt(0)
	; wave barrier
	s_waitcnt lgkmcnt(0)
	v_add_lshl_u32 v2, v2, v3, 1
	ds_write_b16 v2, v1
	v_add_u32_e32 v2, v2, v2
	s_waitcnt lgkmcnt(0)
	; wave barrier
	s_waitcnt lgkmcnt(0)
	ds_read_u16 v1, v15
	s_waitcnt lgkmcnt(0)
	; wave barrier
	s_waitcnt lgkmcnt(0)
	ds_write_b32 v2, v19
	s_waitcnt lgkmcnt(0)
	; wave barrier
	s_waitcnt lgkmcnt(0)
	ds_read_b32 v19, v14
	s_waitcnt lgkmcnt(0)
	; wave barrier
	s_waitcnt lgkmcnt(0)
	s_and_saveexec_b64 s[20:21], s[16:17]
	s_cbranch_execz .LBB47_126
; %bb.99:
	s_movk_i32 s18, 0x103
	v_bfrev_b32_e32 v3, -4.0
	v_cmp_gt_u32_e32 vcc, s18, v0
	v_subb_co_u32_e64 v3, s[18:19], v3, v0, vcc
	s_mov_b32 s18, 0xbacf914d
	v_sub_u32_e32 v2, 0x103, v0
	v_mul_hi_u32 v3, v3, s18
	v_subb_co_u32_e64 v2, s[18:19], v2, v3, vcc
	v_lshrrev_b32_e32 v2, 1, v2
	v_add_u32_e32 v2, v2, v3
	v_lshrrev_b32_e32 v2, 5, v2
	v_addc_co_u32_e32 v2, vcc, 0, v2, vcc
	v_lshrrev_b32_e32 v3, 1, v2
	s_mov_b32 s28, 0
	v_add_u32_e32 v3, 1, v3
	v_cmp_lt_u32_e32 vcc, 5, v2
	s_and_saveexec_b64 s[22:23], vcc
	s_cbranch_execz .LBB47_119
; %bb.100:
	v_mov_b32_e32 v5, 0x128
	v_and_b32_e32 v4, 0xffffffc, v3
	v_lshl_add_u32 v6, v0, 2, v5
	s_mov_b64 s[24:25], 0
	v_mov_b32_e32 v7, 0
	v_mov_b32_e32 v8, v14
	s_branch .LBB47_102
.LBB47_101:                             ;   in Loop: Header=BB47_102 Depth=1
	s_or_b64 exec, exec, s[18:19]
	v_add_u32_e32 v4, -4, v4
	s_add_i32 s18, s28, 8
	v_cmp_eq_u32_e32 vcc, 0, v4
	s_add_i32 s28, s29, 2
	v_add_u32_e32 v8, 0x4a0, v8
	v_add_u32_e32 v6, 0x4a0, v6
	s_or_b64 s[24:25], vcc, s[24:25]
	v_mov_b32_e32 v5, s18
	s_andn2_b64 exec, exec, s[24:25]
	s_cbranch_execz .LBB47_118
.LBB47_102:                             ; =>This Inner Loop Header: Depth=1
	s_or_b32 s18, s28, 1
	v_cmp_le_u32_e32 vcc, s18, v2
	v_cmp_le_u32_e64 s[18:19], s28, v2
	s_and_saveexec_b64 s[26:27], s[18:19]
	s_cbranch_execz .LBB47_104
; %bb.103:                              ;   in Loop: Header=BB47_102 Depth=1
	ds_write_b32 v8, v7
.LBB47_104:                             ;   in Loop: Header=BB47_102 Depth=1
	s_or_b64 exec, exec, s[26:27]
	s_and_saveexec_b64 s[18:19], vcc
	s_cbranch_execz .LBB47_106
; %bb.105:                              ;   in Loop: Header=BB47_102 Depth=1
	ds_write_b32 v8, v7 offset:148
.LBB47_106:                             ;   in Loop: Header=BB47_102 Depth=1
	s_or_b64 exec, exec, s[18:19]
	s_add_i32 s29, s28, 2
	s_add_i32 s18, s28, 3
	v_cmp_le_u32_e32 vcc, s18, v2
	v_cmp_le_u32_e64 s[18:19], s29, v2
	s_and_saveexec_b64 s[26:27], s[18:19]
	s_cbranch_execz .LBB47_108
; %bb.107:                              ;   in Loop: Header=BB47_102 Depth=1
	ds_write_b32 v6, v7
.LBB47_108:                             ;   in Loop: Header=BB47_102 Depth=1
	s_or_b64 exec, exec, s[26:27]
	s_and_saveexec_b64 s[18:19], vcc
	s_cbranch_execz .LBB47_110
; %bb.109:                              ;   in Loop: Header=BB47_102 Depth=1
	ds_write_b32 v6, v7 offset:148
.LBB47_110:                             ;   in Loop: Header=BB47_102 Depth=1
	s_or_b64 exec, exec, s[18:19]
	s_add_i32 s30, s29, 2
	s_add_i32 s29, s29, 3
	v_cmp_le_u32_e32 vcc, s29, v2
	v_cmp_le_u32_e64 s[18:19], s30, v2
	s_and_saveexec_b64 s[26:27], s[18:19]
	s_cbranch_execz .LBB47_112
; %bb.111:                              ;   in Loop: Header=BB47_102 Depth=1
	ds_write_b32 v6, v7 offset:296
.LBB47_112:                             ;   in Loop: Header=BB47_102 Depth=1
	s_or_b64 exec, exec, s[26:27]
	s_and_saveexec_b64 s[18:19], vcc
	s_cbranch_execz .LBB47_114
; %bb.113:                              ;   in Loop: Header=BB47_102 Depth=1
	ds_write_b32 v6, v7 offset:444
.LBB47_114:                             ;   in Loop: Header=BB47_102 Depth=1
	s_or_b64 exec, exec, s[18:19]
	s_add_i32 s29, s30, 2
	s_add_i32 s30, s30, 3
	v_cmp_le_u32_e32 vcc, s30, v2
	v_cmp_le_u32_e64 s[18:19], s29, v2
	s_and_saveexec_b64 s[26:27], s[18:19]
	s_cbranch_execz .LBB47_116
; %bb.115:                              ;   in Loop: Header=BB47_102 Depth=1
	ds_write_b32 v6, v7 offset:592
.LBB47_116:                             ;   in Loop: Header=BB47_102 Depth=1
	s_or_b64 exec, exec, s[26:27]
	s_and_saveexec_b64 s[18:19], vcc
	s_cbranch_execz .LBB47_101
; %bb.117:                              ;   in Loop: Header=BB47_102 Depth=1
	ds_write_b32 v6, v7 offset:740
	s_branch .LBB47_101
.LBB47_118:
	s_or_b64 exec, exec, s[24:25]
.LBB47_119:
	s_or_b64 exec, exec, s[22:23]
	v_and_b32_e32 v4, 3, v3
	v_cmp_ne_u32_e32 vcc, 0, v4
	s_and_b64 exec, exec, vcc
	s_cbranch_execz .LBB47_126
; %bb.120:
	s_movk_i32 s18, 0x94
	v_mul_lo_u32 v3, v5, s18
	v_mul_u32_u24_e32 v6, 34, v0
	v_add3_u32 v3, v18, v3, v6
	v_mul_u32_u24_e32 v4, 0x94, v4
	s_mov_b64 s[22:23], 0
	v_mov_b32_e32 v6, 0
	s_branch .LBB47_122
.LBB47_121:                             ;   in Loop: Header=BB47_122 Depth=1
	s_or_b64 exec, exec, s[18:19]
	v_add_u32_e32 v4, 0xffffff6c, v4
	v_cmp_eq_u32_e32 vcc, 0, v4
	v_add_u32_e32 v5, 2, v5
	s_or_b64 s[22:23], vcc, s[22:23]
	v_add_u32_e32 v3, 0x128, v3
	s_andn2_b64 exec, exec, s[22:23]
	s_cbranch_execz .LBB47_126
.LBB47_122:                             ; =>This Inner Loop Header: Depth=1
	v_or_b32_e32 v7, 1, v5
	v_cmp_le_u32_e32 vcc, v7, v2
	v_cmp_le_u32_e64 s[18:19], v5, v2
	s_and_saveexec_b64 s[24:25], s[18:19]
	s_cbranch_execz .LBB47_124
; %bb.123:                              ;   in Loop: Header=BB47_122 Depth=1
	ds_write_b32 v3, v6
.LBB47_124:                             ;   in Loop: Header=BB47_122 Depth=1
	s_or_b64 exec, exec, s[24:25]
	s_and_saveexec_b64 s[18:19], vcc
	s_cbranch_execz .LBB47_121
; %bb.125:                              ;   in Loop: Header=BB47_122 Depth=1
	ds_write_b32 v3, v6 offset:148
	s_branch .LBB47_121
.LBB47_126:
	s_or_b64 exec, exec, s[20:21]
	s_movk_i32 s18, 0x7fff
	v_lshrrev_b16_e32 v2, 8, v1
	v_mov_b32_e32 v3, 0x80
	v_cmp_ne_u16_e32 vcc, s18, v1
	v_cndmask_b32_e32 v2, v3, v2, vcc
	v_mov_b32_e32 v3, 7
	v_mov_b32_e32 v4, 2
	v_and_b32_sdwa v3, v2, v3 dst_sel:DWORD dst_unused:UNUSED_PAD src0_sel:WORD_0 src1_sel:DWORD
	v_lshrrev_b32_sdwa v2, v4, v2 dst_sel:DWORD dst_unused:UNUSED_PAD src0_sel:DWORD src1_sel:WORD_0
	v_mad_u32_u24 v3, v3, 37, v0
	v_and_b32_e32 v2, 2, v2
	v_lshl_or_b32 v20, v3, 2, v2
	ds_read_u16 v21, v20
	s_waitcnt lgkmcnt(0)
	v_add_u16_e32 v2, 1, v21
	ds_write_b16 v20, v2
	s_waitcnt lgkmcnt(0)
	; wave barrier
	s_waitcnt lgkmcnt(0)
	ds_read2_b64 v[6:9], v16 offset1:1
	ds_read2_b64 v[2:5], v16 offset0:2 offset1:3
	s_waitcnt lgkmcnt(1)
	v_add_u32_e32 v22, v7, v6
	v_add3_u32 v22, v22, v8, v9
	s_waitcnt lgkmcnt(0)
	v_add3_u32 v22, v22, v2, v3
	v_add3_u32 v5, v22, v4, v5
	s_nop 1
	v_mov_b32_dpp v22, v5 row_shr:1 row_mask:0xf bank_mask:0xf
	v_cndmask_b32_e64 v22, v22, 0, s[14:15]
	v_add_u32_e32 v5, v22, v5
	s_nop 1
	v_mov_b32_dpp v22, v5 row_shr:2 row_mask:0xf bank_mask:0xf
	v_cndmask_b32_e64 v22, 0, v22, s[12:13]
	v_add_u32_e32 v5, v5, v22
	;; [unrolled: 4-line block ×4, first 2 shown]
	s_nop 1
	v_mov_b32_dpp v22, v5 row_bcast:15 row_mask:0xf bank_mask:0xf
	v_cndmask_b32_e64 v22, v22, 0, s[6:7]
	v_add_u32_e32 v5, v5, v22
	s_nop 1
	v_mov_b32_dpp v22, v5 row_bcast:31 row_mask:0xf bank_mask:0xf
	v_cndmask_b32_e64 v22, 0, v22, s[4:5]
	v_add_u32_e32 v5, v5, v22
	s_and_saveexec_b64 s[18:19], s[2:3]
	s_cbranch_execz .LBB47_128
; %bb.127:
	v_mov_b32_e32 v22, 0
	ds_write_b32 v22, v5 offset:1184
.LBB47_128:
	s_or_b64 exec, exec, s[18:19]
	ds_bpermute_b32 v22, v17, v5
	v_mov_b32_e32 v5, 0
	s_waitcnt lgkmcnt(0)
	; wave barrier
	s_waitcnt lgkmcnt(0)
	ds_read_b32 v23, v5 offset:1184
	v_cndmask_b32_e64 v22, v22, 0, s[0:1]
	s_waitcnt lgkmcnt(0)
	v_lshl_add_u32 v22, v23, 16, v22
	v_add_u32_e32 v23, v22, v6
	v_add_u32_e32 v6, v23, v7
	;; [unrolled: 1-line block ×7, first 2 shown]
	ds_write2_b64 v16, v[22:23], v[6:7] offset1:1
	ds_write2_b64 v16, v[8:9], v[2:3] offset0:2 offset1:3
	s_waitcnt lgkmcnt(0)
	; wave barrier
	s_waitcnt lgkmcnt(0)
	ds_read_u16 v2, v20
	v_and_b32_e32 v3, 0xffff, v21
	s_waitcnt lgkmcnt(0)
	; wave barrier
	s_waitcnt lgkmcnt(0)
	v_add_lshl_u32 v2, v2, v3, 1
	ds_write_b16 v2, v1
	v_add_u32_e32 v1, v2, v2
	s_waitcnt lgkmcnt(0)
	; wave barrier
	s_waitcnt lgkmcnt(0)
	ds_read_u16 v8, v15
	s_waitcnt lgkmcnt(0)
	; wave barrier
	s_waitcnt lgkmcnt(0)
	ds_write_b32 v1, v19
	s_waitcnt lgkmcnt(0)
	; wave barrier
	s_waitcnt lgkmcnt(0)
	ds_read_b32 v9, v14
	s_waitcnt lgkmcnt(0)
	; wave barrier
	s_waitcnt lgkmcnt(0)
	s_and_saveexec_b64 s[18:19], s[16:17]
	s_cbranch_execz .LBB47_156
; %bb.129:
	s_movk_i32 s16, 0x103
	v_bfrev_b32_e32 v2, -4.0
	v_cmp_gt_u32_e32 vcc, s16, v0
	v_subb_co_u32_e64 v2, s[16:17], v2, v0, vcc
	s_mov_b32 s16, 0xbacf914d
	v_sub_u32_e32 v1, 0x103, v0
	v_mul_hi_u32 v2, v2, s16
	v_subb_co_u32_e64 v1, s[16:17], v1, v2, vcc
	v_lshrrev_b32_e32 v1, 1, v1
	v_add_u32_e32 v1, v1, v2
	v_lshrrev_b32_e32 v1, 5, v1
	v_addc_co_u32_e32 v1, vcc, 0, v1, vcc
	v_lshrrev_b32_e32 v2, 1, v1
	s_mov_b32 s26, 0
	v_add_u32_e32 v2, 1, v2
	v_cmp_lt_u32_e32 vcc, 5, v1
	s_and_saveexec_b64 s[20:21], vcc
	s_cbranch_execz .LBB47_149
; %bb.130:
	v_mov_b32_e32 v4, 0x128
	v_and_b32_e32 v3, 0xffffffc, v2
	v_lshl_add_u32 v4, v0, 2, v4
	s_mov_b64 s[22:23], 0
	v_mov_b32_e32 v6, 0
	v_mov_b32_e32 v7, v14
	s_branch .LBB47_132
.LBB47_131:                             ;   in Loop: Header=BB47_132 Depth=1
	s_or_b64 exec, exec, s[16:17]
	v_add_u32_e32 v3, -4, v3
	s_add_i32 s16, s26, 8
	v_cmp_eq_u32_e32 vcc, 0, v3
	s_add_i32 s26, s27, 2
	v_add_u32_e32 v7, 0x4a0, v7
	v_add_u32_e32 v4, 0x4a0, v4
	s_or_b64 s[22:23], vcc, s[22:23]
	v_mov_b32_e32 v5, s16
	s_andn2_b64 exec, exec, s[22:23]
	s_cbranch_execz .LBB47_148
.LBB47_132:                             ; =>This Inner Loop Header: Depth=1
	s_or_b32 s16, s26, 1
	v_cmp_le_u32_e32 vcc, s16, v1
	v_cmp_le_u32_e64 s[16:17], s26, v1
	s_and_saveexec_b64 s[24:25], s[16:17]
	s_cbranch_execz .LBB47_134
; %bb.133:                              ;   in Loop: Header=BB47_132 Depth=1
	ds_write_b32 v7, v6
.LBB47_134:                             ;   in Loop: Header=BB47_132 Depth=1
	s_or_b64 exec, exec, s[24:25]
	s_and_saveexec_b64 s[16:17], vcc
	s_cbranch_execz .LBB47_136
; %bb.135:                              ;   in Loop: Header=BB47_132 Depth=1
	ds_write_b32 v7, v6 offset:148
.LBB47_136:                             ;   in Loop: Header=BB47_132 Depth=1
	s_or_b64 exec, exec, s[16:17]
	s_add_i32 s27, s26, 2
	s_add_i32 s16, s26, 3
	v_cmp_le_u32_e32 vcc, s16, v1
	v_cmp_le_u32_e64 s[16:17], s27, v1
	s_and_saveexec_b64 s[24:25], s[16:17]
	s_cbranch_execz .LBB47_138
; %bb.137:                              ;   in Loop: Header=BB47_132 Depth=1
	ds_write_b32 v4, v6
.LBB47_138:                             ;   in Loop: Header=BB47_132 Depth=1
	s_or_b64 exec, exec, s[24:25]
	s_and_saveexec_b64 s[16:17], vcc
	s_cbranch_execz .LBB47_140
; %bb.139:                              ;   in Loop: Header=BB47_132 Depth=1
	ds_write_b32 v4, v6 offset:148
.LBB47_140:                             ;   in Loop: Header=BB47_132 Depth=1
	s_or_b64 exec, exec, s[16:17]
	s_add_i32 s28, s27, 2
	s_add_i32 s27, s27, 3
	v_cmp_le_u32_e32 vcc, s27, v1
	v_cmp_le_u32_e64 s[16:17], s28, v1
	s_and_saveexec_b64 s[24:25], s[16:17]
	s_cbranch_execz .LBB47_142
; %bb.141:                              ;   in Loop: Header=BB47_132 Depth=1
	ds_write_b32 v4, v6 offset:296
.LBB47_142:                             ;   in Loop: Header=BB47_132 Depth=1
	s_or_b64 exec, exec, s[24:25]
	s_and_saveexec_b64 s[16:17], vcc
	s_cbranch_execz .LBB47_144
; %bb.143:                              ;   in Loop: Header=BB47_132 Depth=1
	ds_write_b32 v4, v6 offset:444
.LBB47_144:                             ;   in Loop: Header=BB47_132 Depth=1
	s_or_b64 exec, exec, s[16:17]
	s_add_i32 s27, s28, 2
	s_add_i32 s28, s28, 3
	v_cmp_le_u32_e32 vcc, s28, v1
	v_cmp_le_u32_e64 s[16:17], s27, v1
	s_and_saveexec_b64 s[24:25], s[16:17]
	s_cbranch_execz .LBB47_146
; %bb.145:                              ;   in Loop: Header=BB47_132 Depth=1
	ds_write_b32 v4, v6 offset:592
.LBB47_146:                             ;   in Loop: Header=BB47_132 Depth=1
	s_or_b64 exec, exec, s[24:25]
	s_and_saveexec_b64 s[16:17], vcc
	s_cbranch_execz .LBB47_131
; %bb.147:                              ;   in Loop: Header=BB47_132 Depth=1
	ds_write_b32 v4, v6 offset:740
	s_branch .LBB47_131
.LBB47_148:
	s_or_b64 exec, exec, s[22:23]
.LBB47_149:
	s_or_b64 exec, exec, s[20:21]
	v_and_b32_e32 v3, 3, v2
	v_cmp_ne_u32_e32 vcc, 0, v3
	s_and_b64 exec, exec, vcc
	s_cbranch_execz .LBB47_156
; %bb.150:
	s_movk_i32 s16, 0x94
	v_mul_lo_u32 v2, v5, s16
	v_mul_u32_u24_e32 v4, 34, v0
	v_add3_u32 v2, v18, v2, v4
	v_mul_u32_u24_e32 v3, 0x94, v3
	s_mov_b64 s[20:21], 0
	v_mov_b32_e32 v4, 0
	s_branch .LBB47_152
.LBB47_151:                             ;   in Loop: Header=BB47_152 Depth=1
	s_or_b64 exec, exec, s[16:17]
	v_add_u32_e32 v3, 0xffffff6c, v3
	v_cmp_eq_u32_e32 vcc, 0, v3
	v_add_u32_e32 v5, 2, v5
	s_or_b64 s[20:21], vcc, s[20:21]
	v_add_u32_e32 v2, 0x128, v2
	s_andn2_b64 exec, exec, s[20:21]
	s_cbranch_execz .LBB47_156
.LBB47_152:                             ; =>This Inner Loop Header: Depth=1
	v_or_b32_e32 v6, 1, v5
	v_cmp_le_u32_e32 vcc, v6, v1
	v_cmp_le_u32_e64 s[16:17], v5, v1
	s_and_saveexec_b64 s[22:23], s[16:17]
	s_cbranch_execz .LBB47_154
; %bb.153:                              ;   in Loop: Header=BB47_152 Depth=1
	ds_write_b32 v2, v4
.LBB47_154:                             ;   in Loop: Header=BB47_152 Depth=1
	s_or_b64 exec, exec, s[22:23]
	s_and_saveexec_b64 s[16:17], vcc
	s_cbranch_execz .LBB47_151
; %bb.155:                              ;   in Loop: Header=BB47_152 Depth=1
	ds_write_b32 v2, v4 offset:148
	s_branch .LBB47_151
.LBB47_156:
	s_or_b64 exec, exec, s[18:19]
	s_movk_i32 s16, 0x7fff
	v_lshrrev_b16_e32 v1, 12, v8
	v_cmp_ne_u16_e32 vcc, s16, v8
	v_cndmask_b32_e32 v1, 8, v1, vcc
	v_mov_b32_e32 v2, 7
	v_and_b32_sdwa v2, v1, v2 dst_sel:DWORD dst_unused:UNUSED_PAD src0_sel:WORD_0 src1_sel:DWORD
	v_mad_u32_u24 v0, v2, 37, v0
	v_mov_b32_e32 v2, 2
	v_lshrrev_b32_sdwa v1, v2, v1 dst_sel:DWORD dst_unused:UNUSED_PAD src0_sel:DWORD src1_sel:WORD_0
	v_and_b32_e32 v1, 2, v1
	v_lshl_or_b32 v18, v0, 2, v1
	ds_read_u16 v19, v18
	s_waitcnt lgkmcnt(0)
	v_add_u16_e32 v0, 1, v19
	ds_write_b16 v18, v0
	s_waitcnt lgkmcnt(0)
	; wave barrier
	s_waitcnt lgkmcnt(0)
	ds_read2_b64 v[4:7], v16 offset1:1
	ds_read2_b64 v[0:3], v16 offset0:2 offset1:3
	s_waitcnt lgkmcnt(1)
	v_add_u32_e32 v20, v5, v4
	v_add3_u32 v20, v20, v6, v7
	s_waitcnt lgkmcnt(0)
	v_add3_u32 v20, v20, v0, v1
	v_add3_u32 v3, v20, v2, v3
	s_nop 1
	v_mov_b32_dpp v20, v3 row_shr:1 row_mask:0xf bank_mask:0xf
	v_cndmask_b32_e64 v20, v20, 0, s[14:15]
	v_add_u32_e32 v3, v20, v3
	s_nop 1
	v_mov_b32_dpp v20, v3 row_shr:2 row_mask:0xf bank_mask:0xf
	v_cndmask_b32_e64 v20, 0, v20, s[12:13]
	v_add_u32_e32 v3, v3, v20
	;; [unrolled: 4-line block ×4, first 2 shown]
	s_nop 1
	v_mov_b32_dpp v20, v3 row_bcast:15 row_mask:0xf bank_mask:0xf
	v_cndmask_b32_e64 v20, v20, 0, s[6:7]
	v_add_u32_e32 v3, v3, v20
	s_nop 1
	v_mov_b32_dpp v20, v3 row_bcast:31 row_mask:0xf bank_mask:0xf
	v_cndmask_b32_e64 v20, 0, v20, s[4:5]
	v_add_u32_e32 v3, v3, v20
	s_and_saveexec_b64 s[4:5], s[2:3]
	s_cbranch_execz .LBB47_158
; %bb.157:
	v_mov_b32_e32 v20, 0
	ds_write_b32 v20, v3 offset:1184
.LBB47_158:
	s_or_b64 exec, exec, s[4:5]
	ds_bpermute_b32 v3, v17, v3
	v_mov_b32_e32 v17, 0
	s_waitcnt lgkmcnt(0)
	; wave barrier
	s_waitcnt lgkmcnt(0)
	ds_read_b32 v17, v17 offset:1184
	v_cndmask_b32_e64 v3, v3, 0, s[0:1]
	s_waitcnt lgkmcnt(0)
	v_lshl_add_u32 v20, v17, 16, v3
	v_add_u32_e32 v21, v20, v4
	v_add_u32_e32 v4, v21, v5
	;; [unrolled: 1-line block ×7, first 2 shown]
	ds_write2_b64 v16, v[20:21], v[4:5] offset1:1
	ds_write2_b64 v16, v[6:7], v[0:1] offset0:2 offset1:3
	s_waitcnt lgkmcnt(0)
	; wave barrier
	s_waitcnt lgkmcnt(0)
	ds_read_u16 v0, v18
	v_and_b32_e32 v1, 0xffff, v19
	s_waitcnt lgkmcnt(0)
	; wave barrier
	s_waitcnt lgkmcnt(0)
	v_add_lshl_u32 v0, v0, v1, 1
	ds_write_b16 v0, v8
	s_waitcnt lgkmcnt(0)
	; wave barrier
	s_waitcnt lgkmcnt(0)
	ds_read_u16 v1, v15
	v_add_u32_e32 v0, v0, v0
	s_waitcnt lgkmcnt(0)
	; wave barrier
	s_waitcnt lgkmcnt(0)
	ds_write_b32 v0, v9
	s_waitcnt lgkmcnt(0)
	; wave barrier
.LBB47_159:
	s_waitcnt lgkmcnt(0)
	ds_read_b32 v0, v14
	v_mov_b32_e32 v2, 0xffff8000
	v_cmp_lt_i16_e32 vcc, -1, v1
	v_cndmask_b32_e64 v2, v2, -1, vcc
	v_xor_b32_e32 v1, v2, v1
	global_store_short v[10:11], v1, off
	s_waitcnt lgkmcnt(0)
	global_store_dword v[12:13], v0, off
	s_endpgm
	.section	.rodata,"a",@progbits
	.p2align	6, 0x0
	.amdhsa_kernel _Z21sort_key_value_kernelILj37ELj1ELb0ELb0E12hip_bfloat16iEvPT3_PT4_jj
		.amdhsa_group_segment_fixed_size 1200
		.amdhsa_private_segment_fixed_size 0
		.amdhsa_kernarg_size 24
		.amdhsa_user_sgpr_count 6
		.amdhsa_user_sgpr_private_segment_buffer 1
		.amdhsa_user_sgpr_dispatch_ptr 0
		.amdhsa_user_sgpr_queue_ptr 0
		.amdhsa_user_sgpr_kernarg_segment_ptr 1
		.amdhsa_user_sgpr_dispatch_id 0
		.amdhsa_user_sgpr_flat_scratch_init 0
		.amdhsa_user_sgpr_kernarg_preload_length 0
		.amdhsa_user_sgpr_kernarg_preload_offset 0
		.amdhsa_user_sgpr_private_segment_size 0
		.amdhsa_uses_dynamic_stack 0
		.amdhsa_system_sgpr_private_segment_wavefront_offset 0
		.amdhsa_system_sgpr_workgroup_id_x 1
		.amdhsa_system_sgpr_workgroup_id_y 0
		.amdhsa_system_sgpr_workgroup_id_z 0
		.amdhsa_system_sgpr_workgroup_info 0
		.amdhsa_system_vgpr_workitem_id 0
		.amdhsa_next_free_vgpr 34
		.amdhsa_next_free_sgpr 42
		.amdhsa_accum_offset 36
		.amdhsa_reserve_vcc 1
		.amdhsa_reserve_flat_scratch 0
		.amdhsa_float_round_mode_32 0
		.amdhsa_float_round_mode_16_64 0
		.amdhsa_float_denorm_mode_32 3
		.amdhsa_float_denorm_mode_16_64 3
		.amdhsa_dx10_clamp 1
		.amdhsa_ieee_mode 1
		.amdhsa_fp16_overflow 0
		.amdhsa_tg_split 0
		.amdhsa_exception_fp_ieee_invalid_op 0
		.amdhsa_exception_fp_denorm_src 0
		.amdhsa_exception_fp_ieee_div_zero 0
		.amdhsa_exception_fp_ieee_overflow 0
		.amdhsa_exception_fp_ieee_underflow 0
		.amdhsa_exception_fp_ieee_inexact 0
		.amdhsa_exception_int_div_zero 0
	.end_amdhsa_kernel
	.section	.text._Z21sort_key_value_kernelILj37ELj1ELb0ELb0E12hip_bfloat16iEvPT3_PT4_jj,"axG",@progbits,_Z21sort_key_value_kernelILj37ELj1ELb0ELb0E12hip_bfloat16iEvPT3_PT4_jj,comdat
.Lfunc_end47:
	.size	_Z21sort_key_value_kernelILj37ELj1ELb0ELb0E12hip_bfloat16iEvPT3_PT4_jj, .Lfunc_end47-_Z21sort_key_value_kernelILj37ELj1ELb0ELb0E12hip_bfloat16iEvPT3_PT4_jj
                                        ; -- End function
	.section	.AMDGPU.csdata,"",@progbits
; Kernel info:
; codeLenInByte = 6032
; NumSgprs: 46
; NumVgprs: 34
; NumAgprs: 0
; TotalNumVgprs: 34
; ScratchSize: 0
; MemoryBound: 0
; FloatMode: 240
; IeeeMode: 1
; LDSByteSize: 1200 bytes/workgroup (compile time only)
; SGPRBlocks: 5
; VGPRBlocks: 4
; NumSGPRsForWavesPerEU: 46
; NumVGPRsForWavesPerEU: 34
; AccumOffset: 36
; Occupancy: 8
; WaveLimiterHint : 0
; COMPUTE_PGM_RSRC2:SCRATCH_EN: 0
; COMPUTE_PGM_RSRC2:USER_SGPR: 6
; COMPUTE_PGM_RSRC2:TRAP_HANDLER: 0
; COMPUTE_PGM_RSRC2:TGID_X_EN: 1
; COMPUTE_PGM_RSRC2:TGID_Y_EN: 0
; COMPUTE_PGM_RSRC2:TGID_Z_EN: 0
; COMPUTE_PGM_RSRC2:TIDIG_COMP_CNT: 0
; COMPUTE_PGM_RSRC3_GFX90A:ACCUM_OFFSET: 8
; COMPUTE_PGM_RSRC3_GFX90A:TG_SPLIT: 0
	.section	.text._Z21sort_key_value_kernelILj37ELj1ELb0ELb0EfiEvPT3_PT4_jj,"axG",@progbits,_Z21sort_key_value_kernelILj37ELj1ELb0ELb0EfiEvPT3_PT4_jj,comdat
	.protected	_Z21sort_key_value_kernelILj37ELj1ELb0ELb0EfiEvPT3_PT4_jj ; -- Begin function _Z21sort_key_value_kernelILj37ELj1ELb0ELb0EfiEvPT3_PT4_jj
	.globl	_Z21sort_key_value_kernelILj37ELj1ELb0ELb0EfiEvPT3_PT4_jj
	.p2align	8
	.type	_Z21sort_key_value_kernelILj37ELj1ELb0ELb0EfiEvPT3_PT4_jj,@function
_Z21sort_key_value_kernelILj37ELj1ELb0ELb0EfiEvPT3_PT4_jj: ; @_Z21sort_key_value_kernelILj37ELj1ELb0ELb0EfiEvPT3_PT4_jj
; %bb.0:
	s_load_dwordx4 s[0:3], s[4:5], 0x0
	s_load_dwordx2 s[28:29], s[4:5], 0x10
	s_mul_i32 s4, s6, 37
	s_mov_b32 s5, 0
	s_lshl_b64 s[4:5], s[4:5], 2
	s_waitcnt lgkmcnt(0)
	s_add_u32 s24, s0, s4
	s_addc_u32 s25, s1, s5
	v_lshlrev_b32_e32 v13, 2, v0
	global_load_dword v1, v13, s[24:25]
	s_add_u32 s26, s2, s4
	s_addc_u32 s27, s3, s5
	global_load_dword v18, v13, s[26:27]
	v_mbcnt_lo_u32_b32 v2, -1, 0
	s_cmp_eq_u32 s28, 0
	v_mbcnt_hi_u32_b32 v2, -1, v2
	s_cselect_b64 s[18:19], -1, 0
	s_cmp_eq_u32 s29, 32
	v_add_u32_e32 v5, -1, v2
	v_and_b32_e32 v6, 64, v2
	s_cselect_b64 s[20:21], -1, 0
	s_movk_i32 s0, 0x128
	v_cmp_lt_i32_e32 vcc, v5, v6
	s_and_b64 s[18:19], s[18:19], s[20:21]
	v_bfrev_b32_e32 v11, 1
	v_cmp_gt_u32_e64 s[16:17], s0, v0
	v_and_b32_e32 v3, 15, v2
	v_and_b32_e32 v4, 16, v2
	v_cmp_lt_u32_e64 s[4:5], 31, v2
	v_cmp_eq_u32_e64 s[0:1], 0, v2
	v_cndmask_b32_e32 v2, v5, v2, vcc
	s_and_b64 vcc, exec, s[18:19]
	s_movk_i32 s6, 0xffe4
	v_lshlrev_b32_e32 v15, 5, v0
	v_lshlrev_b32_e32 v16, 2, v2
	v_cmp_eq_u32_e64 s[2:3], 36, v0
	v_mul_i32_i24_e32 v17, 0xffffffe4, v0
	v_mad_i32_i24 v14, v0, s6, v15
	v_cmp_eq_u32_e64 s[14:15], 0, v3
	v_cmp_lt_u32_e64 s[12:13], 1, v3
	v_cmp_lt_u32_e64 s[10:11], 3, v3
	;; [unrolled: 1-line block ×3, first 2 shown]
	v_cmp_eq_u32_e64 s[6:7], 0, v4
	v_mov_b32_e32 v21, s25
	v_mov_b32_e32 v20, s27
	s_waitcnt vmcnt(1)
	v_cmp_lt_i32_e64 s[18:19], -1, v1
	v_cndmask_b32_e64 v2, -1, v11, s[18:19]
	v_xor_b32_e32 v19, v2, v1
	s_cbranch_vccnz .LBB48_36
; %bb.1:
	s_movk_i32 s18, 0x103
	v_bfrev_b32_e32 v2, -4.0
	v_cmp_gt_u32_e32 vcc, s18, v0
	v_subb_co_u32_e64 v2, s[18:19], v2, v0, vcc
	s_mov_b32 s18, 0xbacf914d
	v_sub_u32_e32 v1, 0x103, v0
	v_mul_hi_u32 v2, v2, s18
	v_subb_co_u32_e64 v1, s[18:19], v1, v2, vcc
	v_lshrrev_b32_e32 v1, 1, v1
	v_add_u32_e32 v1, v1, v2
	v_lshrrev_b32_e32 v1, 5, v1
	v_addc_co_u32_e32 v10, vcc, 0, v1, vcc
	v_lshrrev_b32_e32 v1, 1, v10
	v_add_u32_e32 v2, 1, v1
	v_and_b32_e32 v3, 3, v2
	v_and_b32_e32 v22, 0xffffffc, v2
	v_mov_b32_e32 v2, 0x128
	v_mov_b32_e32 v1, v10
	v_cmp_lt_u32_e64 s[18:19], 5, v10
	v_cmp_ne_u32_e64 s[20:21], 0, v3
	v_lshl_add_u32 v23, v0, 2, v2
	v_lshl_add_u32 v12, v0, 5, v17
	s_movk_i32 s25, 0x94
	v_mul_u32_u24_e32 v25, 0x94, v3
	v_mov_b32_e32 v26, 0
	s_brev_b32 s27, -2
	v_mov_b32_e32 v27, 2
	s_waitcnt vmcnt(0)
	v_mov_b32_e32 v4, v18
	v_mov_b32_e32 v3, v19
	s_branch .LBB48_3
.LBB48_2:                               ;   in Loop: Header=BB48_3 Depth=1
	; wave barrier
	ds_write_b32 v2, v28
	s_waitcnt lgkmcnt(0)
	; wave barrier
	s_waitcnt lgkmcnt(0)
	ds_read_b32 v3, v14
	s_waitcnt lgkmcnt(0)
	; wave barrier
	s_waitcnt lgkmcnt(0)
	ds_write_b32 v2, v24
	s_waitcnt lgkmcnt(0)
	; wave barrier
	s_waitcnt lgkmcnt(0)
	ds_read_b32 v4, v14
	s_waitcnt lgkmcnt(0)
	; wave barrier
	s_waitcnt lgkmcnt(0)
	s_cbranch_execz .LBB48_35
.LBB48_3:                               ; =>This Loop Header: Depth=1
                                        ;     Child Loop BB48_7 Depth 2
                                        ;     Child Loop BB48_27 Depth 2
	v_mov_b32_e32 v28, v3
	v_mov_b32_e32 v24, v4
	s_and_saveexec_b64 s[30:31], s[16:17]
	s_cbranch_execz .LBB48_31
; %bb.4:                                ;   in Loop: Header=BB48_3 Depth=1
	v_mov_b32_e32 v5, 0
	s_and_saveexec_b64 s[34:35], s[18:19]
	s_cbranch_execz .LBB48_24
; %bb.5:                                ;   in Loop: Header=BB48_3 Depth=1
	s_mov_b32 s33, 0
	s_mov_b64 s[36:37], 0
	v_mov_b32_e32 v2, v22
	v_mov_b32_e32 v3, v23
	;; [unrolled: 1-line block ×3, first 2 shown]
	s_branch .LBB48_7
.LBB48_6:                               ;   in Loop: Header=BB48_7 Depth=2
	s_or_b64 exec, exec, s[22:23]
	v_add_u32_e32 v2, -4, v2
	s_add_i32 s22, s33, 8
	v_cmp_eq_u32_e32 vcc, 0, v2
	s_add_i32 s33, s40, 2
	v_add_u32_e32 v4, 0x4a0, v4
	v_add_u32_e32 v3, 0x4a0, v3
	s_or_b64 s[36:37], vcc, s[36:37]
	v_mov_b32_e32 v5, s22
	s_andn2_b64 exec, exec, s[36:37]
	s_cbranch_execz .LBB48_23
.LBB48_7:                               ;   Parent Loop BB48_3 Depth=1
                                        ; =>  This Inner Loop Header: Depth=2
	s_or_b32 s22, s33, 1
	v_cmp_le_u32_e32 vcc, s22, v1
	v_cmp_le_u32_e64 s[22:23], s33, v10
	s_and_saveexec_b64 s[38:39], s[22:23]
	s_cbranch_execz .LBB48_9
; %bb.8:                                ;   in Loop: Header=BB48_7 Depth=2
	ds_write_b32 v4, v26
.LBB48_9:                               ;   in Loop: Header=BB48_7 Depth=2
	s_or_b64 exec, exec, s[38:39]
	s_and_saveexec_b64 s[22:23], vcc
	s_cbranch_execz .LBB48_11
; %bb.10:                               ;   in Loop: Header=BB48_7 Depth=2
	ds_write_b32 v4, v26 offset:148
.LBB48_11:                              ;   in Loop: Header=BB48_7 Depth=2
	s_or_b64 exec, exec, s[22:23]
	s_add_i32 s40, s33, 2
	s_add_i32 s22, s33, 3
	v_cmp_le_u32_e32 vcc, s22, v1
	v_cmp_le_u32_e64 s[22:23], s40, v10
	s_and_saveexec_b64 s[38:39], s[22:23]
	s_cbranch_execz .LBB48_13
; %bb.12:                               ;   in Loop: Header=BB48_7 Depth=2
	ds_write_b32 v3, v26
.LBB48_13:                              ;   in Loop: Header=BB48_7 Depth=2
	s_or_b64 exec, exec, s[38:39]
	s_and_saveexec_b64 s[22:23], vcc
	s_cbranch_execz .LBB48_15
; %bb.14:                               ;   in Loop: Header=BB48_7 Depth=2
	ds_write_b32 v3, v26 offset:148
.LBB48_15:                              ;   in Loop: Header=BB48_7 Depth=2
	s_or_b64 exec, exec, s[22:23]
	s_add_i32 s41, s40, 2
	s_add_i32 s40, s40, 3
	v_cmp_le_u32_e32 vcc, s40, v1
	v_cmp_le_u32_e64 s[22:23], s41, v10
	s_and_saveexec_b64 s[38:39], s[22:23]
	s_cbranch_execz .LBB48_17
; %bb.16:                               ;   in Loop: Header=BB48_7 Depth=2
	ds_write_b32 v3, v26 offset:296
.LBB48_17:                              ;   in Loop: Header=BB48_7 Depth=2
	s_or_b64 exec, exec, s[38:39]
	s_and_saveexec_b64 s[22:23], vcc
	s_cbranch_execz .LBB48_19
; %bb.18:                               ;   in Loop: Header=BB48_7 Depth=2
	ds_write_b32 v3, v26 offset:444
.LBB48_19:                              ;   in Loop: Header=BB48_7 Depth=2
	s_or_b64 exec, exec, s[22:23]
	s_add_i32 s40, s41, 2
	s_add_i32 s41, s41, 3
	v_cmp_le_u32_e32 vcc, s41, v1
	v_cmp_le_u32_e64 s[22:23], s40, v10
	s_and_saveexec_b64 s[38:39], s[22:23]
	s_cbranch_execz .LBB48_21
; %bb.20:                               ;   in Loop: Header=BB48_7 Depth=2
	ds_write_b32 v3, v26 offset:592
.LBB48_21:                              ;   in Loop: Header=BB48_7 Depth=2
	s_or_b64 exec, exec, s[38:39]
	s_and_saveexec_b64 s[22:23], vcc
	s_cbranch_execz .LBB48_6
; %bb.22:                               ;   in Loop: Header=BB48_7 Depth=2
	ds_write_b32 v3, v26 offset:740
	s_branch .LBB48_6
.LBB48_23:                              ;   in Loop: Header=BB48_3 Depth=1
	s_or_b64 exec, exec, s[36:37]
.LBB48_24:                              ;   in Loop: Header=BB48_3 Depth=1
	s_or_b64 exec, exec, s[34:35]
	s_and_b64 exec, exec, s[20:21]
	s_cbranch_execz .LBB48_31
; %bb.25:                               ;   in Loop: Header=BB48_3 Depth=1
	v_mad_u64_u32 v[2:3], s[22:23], v5, s25, v[12:13]
	s_mov_b64 s[34:35], 0
	v_mov_b32_e32 v3, v25
	s_branch .LBB48_27
.LBB48_26:                              ;   in Loop: Header=BB48_27 Depth=2
	s_or_b64 exec, exec, s[22:23]
	v_add_u32_e32 v3, 0xffffff6c, v3
	v_cmp_eq_u32_e32 vcc, 0, v3
	v_add_u32_e32 v5, 2, v5
	s_or_b64 s[34:35], vcc, s[34:35]
	v_add_u32_e32 v2, 0x128, v2
	s_andn2_b64 exec, exec, s[34:35]
	s_cbranch_execz .LBB48_31
.LBB48_27:                              ;   Parent Loop BB48_3 Depth=1
                                        ; =>  This Inner Loop Header: Depth=2
	v_or_b32_e32 v4, 1, v5
	v_cmp_le_u32_e32 vcc, v4, v1
	v_cmp_le_u32_e64 s[22:23], v5, v10
	s_and_saveexec_b64 s[36:37], s[22:23]
	s_cbranch_execz .LBB48_29
; %bb.28:                               ;   in Loop: Header=BB48_27 Depth=2
	ds_write_b32 v2, v26
.LBB48_29:                              ;   in Loop: Header=BB48_27 Depth=2
	s_or_b64 exec, exec, s[36:37]
	s_and_saveexec_b64 s[22:23], vcc
	s_cbranch_execz .LBB48_26
; %bb.30:                               ;   in Loop: Header=BB48_27 Depth=2
	ds_write_b32 v2, v26 offset:148
	s_branch .LBB48_26
.LBB48_31:                              ;   in Loop: Header=BB48_3 Depth=1
	s_or_b64 exec, exec, s[30:31]
	v_cmp_ne_u32_e32 vcc, s27, v28
	s_sub_i32 s22, s29, s28
	v_cndmask_b32_e32 v2, v11, v28, vcc
	s_min_u32 s22, s22, 4
	v_lshrrev_b32_e32 v2, s28, v2
	v_bfe_u32 v2, v2, 0, s22
	v_and_b32_e32 v3, 7, v2
	v_mul_u32_u24_e32 v3, 37, v3
	v_lshrrev_b32_e32 v2, 3, v2
	v_add_lshl_u32 v3, v3, v0, 1
	v_add_lshl_u32 v30, v3, v2, 1
	ds_read_u16 v29, v30
	s_waitcnt lgkmcnt(0)
	v_add_u16_e32 v2, 1, v29
	ds_write_b16 v30, v2
	s_waitcnt lgkmcnt(0)
	; wave barrier
	s_waitcnt lgkmcnt(0)
	ds_read2_b64 v[6:9], v15 offset1:1
	ds_read2_b64 v[2:5], v15 offset0:2 offset1:3
	s_waitcnt lgkmcnt(1)
	v_add_u32_e32 v31, v7, v6
	v_add3_u32 v31, v31, v8, v9
	s_waitcnt lgkmcnt(0)
	v_add3_u32 v31, v31, v2, v3
	v_add3_u32 v5, v31, v4, v5
	s_nop 1
	v_mov_b32_dpp v31, v5 row_shr:1 row_mask:0xf bank_mask:0xf
	v_cndmask_b32_e64 v31, v31, 0, s[14:15]
	v_add_u32_e32 v5, v31, v5
	s_nop 1
	v_mov_b32_dpp v31, v5 row_shr:2 row_mask:0xf bank_mask:0xf
	v_cndmask_b32_e64 v31, 0, v31, s[12:13]
	v_add_u32_e32 v5, v5, v31
	;; [unrolled: 4-line block ×4, first 2 shown]
	s_nop 1
	v_mov_b32_dpp v31, v5 row_bcast:15 row_mask:0xf bank_mask:0xf
	v_cndmask_b32_e64 v31, v31, 0, s[6:7]
	v_add_u32_e32 v5, v5, v31
	s_nop 1
	v_mov_b32_dpp v31, v5 row_bcast:31 row_mask:0xf bank_mask:0xf
	v_cndmask_b32_e64 v31, 0, v31, s[4:5]
	v_add_u32_e32 v5, v5, v31
	s_and_saveexec_b64 s[22:23], s[2:3]
	s_cbranch_execz .LBB48_33
; %bb.32:                               ;   in Loop: Header=BB48_3 Depth=1
	ds_write_b32 v26, v5 offset:1184
.LBB48_33:                              ;   in Loop: Header=BB48_3 Depth=1
	s_or_b64 exec, exec, s[22:23]
	ds_bpermute_b32 v5, v16, v5
	s_waitcnt lgkmcnt(0)
	; wave barrier
	s_waitcnt lgkmcnt(0)
	ds_read_b32 v31, v26 offset:1184
	s_add_i32 s28, s28, 4
	v_cndmask_b32_e64 v5, v5, 0, s[0:1]
	s_cmp_ge_u32 s28, s29
	s_waitcnt lgkmcnt(0)
	v_lshl_add_u32 v32, v31, 16, v5
	v_add_u32_e32 v33, v32, v6
	v_add_u32_e32 v6, v33, v7
	;; [unrolled: 1-line block ×7, first 2 shown]
	ds_write2_b64 v15, v[32:33], v[6:7] offset1:1
	ds_write2_b64 v15, v[8:9], v[2:3] offset0:2 offset1:3
	s_waitcnt lgkmcnt(0)
	; wave barrier
	s_waitcnt lgkmcnt(0)
	ds_read_u16 v2, v30
	v_lshlrev_b32_sdwa v3, v27, v29 dst_sel:DWORD dst_unused:UNUSED_PAD src0_sel:DWORD src1_sel:WORD_0
	s_waitcnt lgkmcnt(0)
	v_lshl_add_u32 v2, v2, 2, v3
	s_cbranch_scc0 .LBB48_2
; %bb.34:
                                        ; implicit-def: $vgpr3
                                        ; implicit-def: $vgpr4
.LBB48_35:
	; wave barrier
	ds_write_b32 v2, v28
	s_waitcnt lgkmcnt(0)
	; wave barrier
	s_waitcnt lgkmcnt(0)
	ds_read_b32 v1, v14
	s_mov_b64 s[18:19], 0
	s_waitcnt lgkmcnt(0)
	; wave barrier
	s_waitcnt lgkmcnt(0)
	ds_write_b32 v2, v24
	s_waitcnt lgkmcnt(0)
	; wave barrier
	s_branch .LBB48_37
.LBB48_36:
	s_mov_b64 s[18:19], -1
                                        ; implicit-def: $vgpr1
.LBB48_37:
	v_add_co_u32_e32 v10, vcc, s24, v13
	v_addc_co_u32_e32 v11, vcc, 0, v21, vcc
	v_add_co_u32_e32 v12, vcc, s26, v13
	v_addc_co_u32_e32 v13, vcc, 0, v20, vcc
	s_and_b64 vcc, exec, s[18:19]
	s_cbranch_vccz .LBB48_279
; %bb.38:
	s_and_saveexec_b64 s[20:21], s[16:17]
	s_cbranch_execz .LBB48_66
; %bb.39:
	s_movk_i32 s18, 0x103
	v_bfrev_b32_e32 v2, -4.0
	v_cmp_gt_u32_e32 vcc, s18, v0
	v_subb_co_u32_e64 v2, s[18:19], v2, v0, vcc
	s_mov_b32 s18, 0xbacf914d
	v_sub_u32_e32 v1, 0x103, v0
	v_mul_hi_u32 v2, v2, s18
	v_subb_co_u32_e64 v1, s[18:19], v1, v2, vcc
	v_lshrrev_b32_e32 v1, 1, v1
	v_add_u32_e32 v1, v1, v2
	v_lshrrev_b32_e32 v1, 5, v1
	v_addc_co_u32_e32 v1, vcc, 0, v1, vcc
	v_lshrrev_b32_e32 v2, 1, v1
	s_mov_b32 s28, 0
	v_mov_b32_e32 v7, 0
	v_add_u32_e32 v2, 1, v2
	v_cmp_lt_u32_e32 vcc, 5, v1
	s_and_saveexec_b64 s[22:23], vcc
	s_cbranch_execz .LBB48_59
; %bb.40:
	v_mov_b32_e32 v4, 0x128
	v_and_b32_e32 v3, 0xffffffc, v2
	v_lshl_add_u32 v4, v0, 2, v4
	s_mov_b64 s[24:25], 0
	v_mov_b32_e32 v5, 0
	v_mov_b32_e32 v6, v14
	s_branch .LBB48_42
.LBB48_41:                              ;   in Loop: Header=BB48_42 Depth=1
	s_or_b64 exec, exec, s[18:19]
	v_add_u32_e32 v3, -4, v3
	s_add_i32 s18, s28, 8
	v_cmp_eq_u32_e32 vcc, 0, v3
	s_add_i32 s28, s29, 2
	v_add_u32_e32 v6, 0x4a0, v6
	v_add_u32_e32 v4, 0x4a0, v4
	s_or_b64 s[24:25], vcc, s[24:25]
	v_mov_b32_e32 v7, s18
	s_andn2_b64 exec, exec, s[24:25]
	s_cbranch_execz .LBB48_58
.LBB48_42:                              ; =>This Inner Loop Header: Depth=1
	s_or_b32 s18, s28, 1
	v_cmp_le_u32_e32 vcc, s18, v1
	v_cmp_le_u32_e64 s[18:19], s28, v1
	s_and_saveexec_b64 s[26:27], s[18:19]
	s_cbranch_execz .LBB48_44
; %bb.43:                               ;   in Loop: Header=BB48_42 Depth=1
	ds_write_b32 v6, v5
.LBB48_44:                              ;   in Loop: Header=BB48_42 Depth=1
	s_or_b64 exec, exec, s[26:27]
	s_and_saveexec_b64 s[18:19], vcc
	s_cbranch_execz .LBB48_46
; %bb.45:                               ;   in Loop: Header=BB48_42 Depth=1
	ds_write_b32 v6, v5 offset:148
.LBB48_46:                              ;   in Loop: Header=BB48_42 Depth=1
	s_or_b64 exec, exec, s[18:19]
	s_add_i32 s29, s28, 2
	s_add_i32 s18, s28, 3
	v_cmp_le_u32_e32 vcc, s18, v1
	v_cmp_le_u32_e64 s[18:19], s29, v1
	s_and_saveexec_b64 s[26:27], s[18:19]
	s_cbranch_execz .LBB48_48
; %bb.47:                               ;   in Loop: Header=BB48_42 Depth=1
	ds_write_b32 v4, v5
.LBB48_48:                              ;   in Loop: Header=BB48_42 Depth=1
	s_or_b64 exec, exec, s[26:27]
	s_and_saveexec_b64 s[18:19], vcc
	s_cbranch_execz .LBB48_50
; %bb.49:                               ;   in Loop: Header=BB48_42 Depth=1
	ds_write_b32 v4, v5 offset:148
.LBB48_50:                              ;   in Loop: Header=BB48_42 Depth=1
	s_or_b64 exec, exec, s[18:19]
	s_add_i32 s30, s29, 2
	s_add_i32 s29, s29, 3
	v_cmp_le_u32_e32 vcc, s29, v1
	v_cmp_le_u32_e64 s[18:19], s30, v1
	s_and_saveexec_b64 s[26:27], s[18:19]
	s_cbranch_execz .LBB48_52
; %bb.51:                               ;   in Loop: Header=BB48_42 Depth=1
	ds_write_b32 v4, v5 offset:296
.LBB48_52:                              ;   in Loop: Header=BB48_42 Depth=1
	s_or_b64 exec, exec, s[26:27]
	s_and_saveexec_b64 s[18:19], vcc
	s_cbranch_execz .LBB48_54
; %bb.53:                               ;   in Loop: Header=BB48_42 Depth=1
	ds_write_b32 v4, v5 offset:444
.LBB48_54:                              ;   in Loop: Header=BB48_42 Depth=1
	s_or_b64 exec, exec, s[18:19]
	s_add_i32 s29, s30, 2
	s_add_i32 s30, s30, 3
	v_cmp_le_u32_e32 vcc, s30, v1
	v_cmp_le_u32_e64 s[18:19], s29, v1
	s_and_saveexec_b64 s[26:27], s[18:19]
	s_cbranch_execz .LBB48_56
; %bb.55:                               ;   in Loop: Header=BB48_42 Depth=1
	ds_write_b32 v4, v5 offset:592
.LBB48_56:                              ;   in Loop: Header=BB48_42 Depth=1
	s_or_b64 exec, exec, s[26:27]
	s_and_saveexec_b64 s[18:19], vcc
	s_cbranch_execz .LBB48_41
; %bb.57:                               ;   in Loop: Header=BB48_42 Depth=1
	ds_write_b32 v4, v5 offset:740
	s_branch .LBB48_41
.LBB48_58:
	s_or_b64 exec, exec, s[24:25]
.LBB48_59:
	s_or_b64 exec, exec, s[22:23]
	v_and_b32_e32 v3, 3, v2
	v_cmp_ne_u32_e32 vcc, 0, v3
	s_and_b64 exec, exec, vcc
	s_cbranch_execz .LBB48_66
; %bb.60:
	s_movk_i32 s18, 0x94
	v_mul_lo_u32 v2, v7, s18
	v_add3_u32 v2, v17, v2, v15
	v_mul_u32_u24_e32 v3, 0x94, v3
	s_mov_b64 s[22:23], 0
	v_mov_b32_e32 v4, 0
	s_branch .LBB48_62
.LBB48_61:                              ;   in Loop: Header=BB48_62 Depth=1
	s_or_b64 exec, exec, s[18:19]
	v_add_u32_e32 v3, 0xffffff6c, v3
	v_cmp_eq_u32_e32 vcc, 0, v3
	v_add_u32_e32 v7, 2, v7
	s_or_b64 s[22:23], vcc, s[22:23]
	v_add_u32_e32 v2, 0x128, v2
	s_andn2_b64 exec, exec, s[22:23]
	s_cbranch_execz .LBB48_66
.LBB48_62:                              ; =>This Inner Loop Header: Depth=1
	v_or_b32_e32 v5, 1, v7
	v_cmp_le_u32_e32 vcc, v5, v1
	v_cmp_le_u32_e64 s[18:19], v7, v1
	s_and_saveexec_b64 s[24:25], s[18:19]
	s_cbranch_execz .LBB48_64
; %bb.63:                               ;   in Loop: Header=BB48_62 Depth=1
	ds_write_b32 v2, v4
.LBB48_64:                              ;   in Loop: Header=BB48_62 Depth=1
	s_or_b64 exec, exec, s[24:25]
	s_and_saveexec_b64 s[18:19], vcc
	s_cbranch_execz .LBB48_61
; %bb.65:                               ;   in Loop: Header=BB48_62 Depth=1
	ds_write_b32 v2, v4 offset:148
	s_branch .LBB48_61
.LBB48_66:
	s_or_b64 exec, exec, s[20:21]
	s_brev_b32 s18, -2
	v_bfrev_b32_e32 v1, 1
	v_cmp_ne_u32_e32 vcc, s18, v19
	v_cndmask_b32_e32 v1, v1, v19, vcc
	v_and_b32_e32 v2, 7, v1
	v_lshrrev_b32_e32 v1, 2, v1
	v_mad_u32_u24 v2, v2, 37, v0
	v_and_b32_e32 v1, 2, v1
	v_lshl_or_b32 v20, v2, 2, v1
	ds_read_u16 v1, v20
	s_waitcnt lgkmcnt(0)
	v_add_u16_e32 v2, 1, v1
	ds_write_b16 v20, v2
	s_waitcnt lgkmcnt(0)
	; wave barrier
	s_waitcnt lgkmcnt(0)
	ds_read2_b64 v[6:9], v15 offset1:1
	ds_read2_b64 v[2:5], v15 offset0:2 offset1:3
	s_waitcnt lgkmcnt(1)
	v_add_u32_e32 v21, v7, v6
	v_add3_u32 v21, v21, v8, v9
	s_waitcnt lgkmcnt(0)
	v_add3_u32 v21, v21, v2, v3
	v_add3_u32 v5, v21, v4, v5
	s_nop 1
	v_mov_b32_dpp v21, v5 row_shr:1 row_mask:0xf bank_mask:0xf
	v_cndmask_b32_e64 v21, v21, 0, s[14:15]
	v_add_u32_e32 v5, v21, v5
	s_nop 1
	v_mov_b32_dpp v21, v5 row_shr:2 row_mask:0xf bank_mask:0xf
	v_cndmask_b32_e64 v21, 0, v21, s[12:13]
	v_add_u32_e32 v5, v5, v21
	;; [unrolled: 4-line block ×4, first 2 shown]
	s_nop 1
	v_mov_b32_dpp v21, v5 row_bcast:15 row_mask:0xf bank_mask:0xf
	v_cndmask_b32_e64 v21, v21, 0, s[6:7]
	v_add_u32_e32 v5, v5, v21
	s_nop 1
	v_mov_b32_dpp v21, v5 row_bcast:31 row_mask:0xf bank_mask:0xf
	v_cndmask_b32_e64 v21, 0, v21, s[4:5]
	v_add_u32_e32 v5, v5, v21
	s_and_saveexec_b64 s[18:19], s[2:3]
	s_cbranch_execz .LBB48_68
; %bb.67:
	v_mov_b32_e32 v21, 0
	ds_write_b32 v21, v5 offset:1184
.LBB48_68:
	s_or_b64 exec, exec, s[18:19]
	ds_bpermute_b32 v21, v16, v5
	v_mov_b32_e32 v5, 0
	s_waitcnt lgkmcnt(0)
	; wave barrier
	s_waitcnt lgkmcnt(0)
	ds_read_b32 v22, v5 offset:1184
	v_cndmask_b32_e64 v21, v21, 0, s[0:1]
	s_waitcnt lgkmcnt(0)
	v_lshl_add_u32 v22, v22, 16, v21
	v_add_u32_e32 v23, v22, v6
	v_add_u32_e32 v6, v23, v7
	;; [unrolled: 1-line block ×7, first 2 shown]
	ds_write2_b64 v15, v[22:23], v[6:7] offset1:1
	ds_write2_b64 v15, v[8:9], v[2:3] offset0:2 offset1:3
	s_waitcnt lgkmcnt(0)
	; wave barrier
	s_waitcnt lgkmcnt(0)
	ds_read_u16 v2, v20
	v_mov_b32_e32 v3, 2
	v_lshlrev_b32_sdwa v1, v3, v1 dst_sel:DWORD dst_unused:UNUSED_PAD src0_sel:DWORD src1_sel:WORD_0
	s_waitcnt lgkmcnt(0)
	; wave barrier
	s_waitcnt lgkmcnt(0)
	v_lshl_add_u32 v2, v2, 2, v1
	ds_write_b32 v2, v19
	s_waitcnt lgkmcnt(0)
	; wave barrier
	s_waitcnt lgkmcnt(0)
	ds_read_b32 v1, v14
	s_waitcnt lgkmcnt(0)
	; wave barrier
	s_waitcnt vmcnt(0) lgkmcnt(0)
	ds_write_b32 v2, v18
	s_waitcnt lgkmcnt(0)
	; wave barrier
	s_waitcnt lgkmcnt(0)
	ds_read_b32 v18, v14
	s_waitcnt lgkmcnt(0)
	; wave barrier
	s_waitcnt lgkmcnt(0)
	s_and_saveexec_b64 s[20:21], s[16:17]
	s_cbranch_execz .LBB48_96
; %bb.69:
	s_movk_i32 s18, 0x103
	v_bfrev_b32_e32 v3, -4.0
	v_cmp_gt_u32_e32 vcc, s18, v0
	v_subb_co_u32_e64 v3, s[18:19], v3, v0, vcc
	s_mov_b32 s18, 0xbacf914d
	v_sub_u32_e32 v2, 0x103, v0
	v_mul_hi_u32 v3, v3, s18
	v_subb_co_u32_e64 v2, s[18:19], v2, v3, vcc
	v_lshrrev_b32_e32 v2, 1, v2
	v_add_u32_e32 v2, v2, v3
	v_lshrrev_b32_e32 v2, 5, v2
	v_addc_co_u32_e32 v2, vcc, 0, v2, vcc
	v_lshrrev_b32_e32 v3, 1, v2
	s_mov_b32 s28, 0
	v_add_u32_e32 v3, 1, v3
	v_cmp_lt_u32_e32 vcc, 5, v2
	s_and_saveexec_b64 s[22:23], vcc
	s_cbranch_execz .LBB48_89
; %bb.70:
	v_mov_b32_e32 v5, 0x128
	v_and_b32_e32 v4, 0xffffffc, v3
	v_lshl_add_u32 v6, v0, 2, v5
	s_mov_b64 s[24:25], 0
	v_mov_b32_e32 v7, 0
	v_mov_b32_e32 v8, v14
	s_branch .LBB48_72
.LBB48_71:                              ;   in Loop: Header=BB48_72 Depth=1
	s_or_b64 exec, exec, s[18:19]
	v_add_u32_e32 v4, -4, v4
	s_add_i32 s18, s28, 8
	v_cmp_eq_u32_e32 vcc, 0, v4
	s_add_i32 s28, s29, 2
	v_add_u32_e32 v8, 0x4a0, v8
	v_add_u32_e32 v6, 0x4a0, v6
	s_or_b64 s[24:25], vcc, s[24:25]
	v_mov_b32_e32 v5, s18
	s_andn2_b64 exec, exec, s[24:25]
	s_cbranch_execz .LBB48_88
.LBB48_72:                              ; =>This Inner Loop Header: Depth=1
	s_or_b32 s18, s28, 1
	v_cmp_le_u32_e32 vcc, s18, v2
	v_cmp_le_u32_e64 s[18:19], s28, v2
	s_and_saveexec_b64 s[26:27], s[18:19]
	s_cbranch_execz .LBB48_74
; %bb.73:                               ;   in Loop: Header=BB48_72 Depth=1
	ds_write_b32 v8, v7
.LBB48_74:                              ;   in Loop: Header=BB48_72 Depth=1
	s_or_b64 exec, exec, s[26:27]
	s_and_saveexec_b64 s[18:19], vcc
	s_cbranch_execz .LBB48_76
; %bb.75:                               ;   in Loop: Header=BB48_72 Depth=1
	ds_write_b32 v8, v7 offset:148
.LBB48_76:                              ;   in Loop: Header=BB48_72 Depth=1
	s_or_b64 exec, exec, s[18:19]
	s_add_i32 s29, s28, 2
	s_add_i32 s18, s28, 3
	v_cmp_le_u32_e32 vcc, s18, v2
	v_cmp_le_u32_e64 s[18:19], s29, v2
	s_and_saveexec_b64 s[26:27], s[18:19]
	s_cbranch_execz .LBB48_78
; %bb.77:                               ;   in Loop: Header=BB48_72 Depth=1
	ds_write_b32 v6, v7
.LBB48_78:                              ;   in Loop: Header=BB48_72 Depth=1
	s_or_b64 exec, exec, s[26:27]
	s_and_saveexec_b64 s[18:19], vcc
	s_cbranch_execz .LBB48_80
; %bb.79:                               ;   in Loop: Header=BB48_72 Depth=1
	ds_write_b32 v6, v7 offset:148
.LBB48_80:                              ;   in Loop: Header=BB48_72 Depth=1
	s_or_b64 exec, exec, s[18:19]
	s_add_i32 s30, s29, 2
	s_add_i32 s29, s29, 3
	v_cmp_le_u32_e32 vcc, s29, v2
	v_cmp_le_u32_e64 s[18:19], s30, v2
	s_and_saveexec_b64 s[26:27], s[18:19]
	s_cbranch_execz .LBB48_82
; %bb.81:                               ;   in Loop: Header=BB48_72 Depth=1
	ds_write_b32 v6, v7 offset:296
.LBB48_82:                              ;   in Loop: Header=BB48_72 Depth=1
	s_or_b64 exec, exec, s[26:27]
	s_and_saveexec_b64 s[18:19], vcc
	s_cbranch_execz .LBB48_84
; %bb.83:                               ;   in Loop: Header=BB48_72 Depth=1
	ds_write_b32 v6, v7 offset:444
.LBB48_84:                              ;   in Loop: Header=BB48_72 Depth=1
	s_or_b64 exec, exec, s[18:19]
	s_add_i32 s29, s30, 2
	s_add_i32 s30, s30, 3
	v_cmp_le_u32_e32 vcc, s30, v2
	v_cmp_le_u32_e64 s[18:19], s29, v2
	s_and_saveexec_b64 s[26:27], s[18:19]
	s_cbranch_execz .LBB48_86
; %bb.85:                               ;   in Loop: Header=BB48_72 Depth=1
	ds_write_b32 v6, v7 offset:592
.LBB48_86:                              ;   in Loop: Header=BB48_72 Depth=1
	s_or_b64 exec, exec, s[26:27]
	s_and_saveexec_b64 s[18:19], vcc
	s_cbranch_execz .LBB48_71
; %bb.87:                               ;   in Loop: Header=BB48_72 Depth=1
	ds_write_b32 v6, v7 offset:740
	s_branch .LBB48_71
.LBB48_88:
	s_or_b64 exec, exec, s[24:25]
.LBB48_89:
	s_or_b64 exec, exec, s[22:23]
	v_and_b32_e32 v4, 3, v3
	v_cmp_ne_u32_e32 vcc, 0, v4
	s_and_b64 exec, exec, vcc
	s_cbranch_execz .LBB48_96
; %bb.90:
	s_movk_i32 s18, 0x94
	v_mul_lo_u32 v3, v5, s18
	v_add3_u32 v3, v17, v3, v15
	v_mul_u32_u24_e32 v4, 0x94, v4
	s_mov_b64 s[22:23], 0
	v_mov_b32_e32 v6, 0
	s_branch .LBB48_92
.LBB48_91:                              ;   in Loop: Header=BB48_92 Depth=1
	s_or_b64 exec, exec, s[18:19]
	v_add_u32_e32 v4, 0xffffff6c, v4
	v_cmp_eq_u32_e32 vcc, 0, v4
	v_add_u32_e32 v5, 2, v5
	s_or_b64 s[22:23], vcc, s[22:23]
	v_add_u32_e32 v3, 0x128, v3
	s_andn2_b64 exec, exec, s[22:23]
	s_cbranch_execz .LBB48_96
.LBB48_92:                              ; =>This Inner Loop Header: Depth=1
	v_or_b32_e32 v7, 1, v5
	v_cmp_le_u32_e32 vcc, v7, v2
	v_cmp_le_u32_e64 s[18:19], v5, v2
	s_and_saveexec_b64 s[24:25], s[18:19]
	s_cbranch_execz .LBB48_94
; %bb.93:                               ;   in Loop: Header=BB48_92 Depth=1
	ds_write_b32 v3, v6
.LBB48_94:                              ;   in Loop: Header=BB48_92 Depth=1
	s_or_b64 exec, exec, s[24:25]
	s_and_saveexec_b64 s[18:19], vcc
	s_cbranch_execz .LBB48_91
; %bb.95:                               ;   in Loop: Header=BB48_92 Depth=1
	ds_write_b32 v3, v6 offset:148
	s_branch .LBB48_91
.LBB48_96:
	s_or_b64 exec, exec, s[20:21]
	s_brev_b32 s18, -2
	v_lshrrev_b32_e32 v2, 4, v1
	v_bfrev_b32_e32 v3, 16
	v_cmp_ne_u32_e32 vcc, s18, v1
	v_cndmask_b32_e32 v2, v3, v2, vcc
	v_and_b32_e32 v3, 7, v2
	v_lshrrev_b32_e32 v2, 2, v2
	v_mad_u32_u24 v3, v3, 37, v0
	v_and_b32_e32 v2, 2, v2
	v_lshl_or_b32 v20, v3, 2, v2
	ds_read_u16 v19, v20
	s_waitcnt lgkmcnt(0)
	v_add_u16_e32 v2, 1, v19
	ds_write_b16 v20, v2
	s_waitcnt lgkmcnt(0)
	; wave barrier
	s_waitcnt lgkmcnt(0)
	ds_read2_b64 v[6:9], v15 offset1:1
	ds_read2_b64 v[2:5], v15 offset0:2 offset1:3
	s_waitcnt lgkmcnt(1)
	v_add_u32_e32 v21, v7, v6
	v_add3_u32 v21, v21, v8, v9
	s_waitcnt lgkmcnt(0)
	v_add3_u32 v21, v21, v2, v3
	v_add3_u32 v5, v21, v4, v5
	s_nop 1
	v_mov_b32_dpp v21, v5 row_shr:1 row_mask:0xf bank_mask:0xf
	v_cndmask_b32_e64 v21, v21, 0, s[14:15]
	v_add_u32_e32 v5, v21, v5
	s_nop 1
	v_mov_b32_dpp v21, v5 row_shr:2 row_mask:0xf bank_mask:0xf
	v_cndmask_b32_e64 v21, 0, v21, s[12:13]
	v_add_u32_e32 v5, v5, v21
	;; [unrolled: 4-line block ×4, first 2 shown]
	s_nop 1
	v_mov_b32_dpp v21, v5 row_bcast:15 row_mask:0xf bank_mask:0xf
	v_cndmask_b32_e64 v21, v21, 0, s[6:7]
	v_add_u32_e32 v5, v5, v21
	s_nop 1
	v_mov_b32_dpp v21, v5 row_bcast:31 row_mask:0xf bank_mask:0xf
	v_cndmask_b32_e64 v21, 0, v21, s[4:5]
	v_add_u32_e32 v5, v5, v21
	s_and_saveexec_b64 s[18:19], s[2:3]
	s_cbranch_execz .LBB48_98
; %bb.97:
	v_mov_b32_e32 v21, 0
	ds_write_b32 v21, v5 offset:1184
.LBB48_98:
	s_or_b64 exec, exec, s[18:19]
	ds_bpermute_b32 v21, v16, v5
	v_mov_b32_e32 v5, 0
	s_waitcnt lgkmcnt(0)
	; wave barrier
	s_waitcnt lgkmcnt(0)
	ds_read_b32 v22, v5 offset:1184
	v_cndmask_b32_e64 v21, v21, 0, s[0:1]
	s_waitcnt lgkmcnt(0)
	v_lshl_add_u32 v22, v22, 16, v21
	v_add_u32_e32 v23, v22, v6
	v_add_u32_e32 v6, v23, v7
	;; [unrolled: 1-line block ×7, first 2 shown]
	ds_write2_b64 v15, v[22:23], v[6:7] offset1:1
	ds_write2_b64 v15, v[8:9], v[2:3] offset0:2 offset1:3
	s_waitcnt lgkmcnt(0)
	; wave barrier
	s_waitcnt lgkmcnt(0)
	ds_read_u16 v2, v20
	v_mov_b32_e32 v3, 2
	v_lshlrev_b32_sdwa v3, v3, v19 dst_sel:DWORD dst_unused:UNUSED_PAD src0_sel:DWORD src1_sel:WORD_0
	s_waitcnt lgkmcnt(0)
	; wave barrier
	s_waitcnt lgkmcnt(0)
	v_lshl_add_u32 v2, v2, 2, v3
	ds_write_b32 v2, v1
	s_waitcnt lgkmcnt(0)
	; wave barrier
	s_waitcnt lgkmcnt(0)
	ds_read_b32 v1, v14
	s_waitcnt lgkmcnt(0)
	; wave barrier
	s_waitcnt lgkmcnt(0)
	ds_write_b32 v2, v18
	s_waitcnt lgkmcnt(0)
	; wave barrier
	s_waitcnt lgkmcnt(0)
	ds_read_b32 v18, v14
	s_waitcnt lgkmcnt(0)
	; wave barrier
	s_waitcnt lgkmcnt(0)
	s_and_saveexec_b64 s[20:21], s[16:17]
	s_cbranch_execz .LBB48_126
; %bb.99:
	s_movk_i32 s18, 0x103
	v_bfrev_b32_e32 v3, -4.0
	v_cmp_gt_u32_e32 vcc, s18, v0
	v_subb_co_u32_e64 v3, s[18:19], v3, v0, vcc
	s_mov_b32 s18, 0xbacf914d
	v_sub_u32_e32 v2, 0x103, v0
	v_mul_hi_u32 v3, v3, s18
	v_subb_co_u32_e64 v2, s[18:19], v2, v3, vcc
	v_lshrrev_b32_e32 v2, 1, v2
	v_add_u32_e32 v2, v2, v3
	v_lshrrev_b32_e32 v2, 5, v2
	v_addc_co_u32_e32 v2, vcc, 0, v2, vcc
	v_lshrrev_b32_e32 v3, 1, v2
	s_mov_b32 s28, 0
	v_add_u32_e32 v3, 1, v3
	v_cmp_lt_u32_e32 vcc, 5, v2
	s_and_saveexec_b64 s[22:23], vcc
	s_cbranch_execz .LBB48_119
; %bb.100:
	v_mov_b32_e32 v5, 0x128
	v_and_b32_e32 v4, 0xffffffc, v3
	v_lshl_add_u32 v6, v0, 2, v5
	s_mov_b64 s[24:25], 0
	v_mov_b32_e32 v7, 0
	v_mov_b32_e32 v8, v14
	s_branch .LBB48_102
.LBB48_101:                             ;   in Loop: Header=BB48_102 Depth=1
	s_or_b64 exec, exec, s[18:19]
	v_add_u32_e32 v4, -4, v4
	s_add_i32 s18, s28, 8
	v_cmp_eq_u32_e32 vcc, 0, v4
	s_add_i32 s28, s29, 2
	v_add_u32_e32 v8, 0x4a0, v8
	v_add_u32_e32 v6, 0x4a0, v6
	s_or_b64 s[24:25], vcc, s[24:25]
	v_mov_b32_e32 v5, s18
	s_andn2_b64 exec, exec, s[24:25]
	s_cbranch_execz .LBB48_118
.LBB48_102:                             ; =>This Inner Loop Header: Depth=1
	s_or_b32 s18, s28, 1
	v_cmp_le_u32_e32 vcc, s18, v2
	v_cmp_le_u32_e64 s[18:19], s28, v2
	s_and_saveexec_b64 s[26:27], s[18:19]
	s_cbranch_execz .LBB48_104
; %bb.103:                              ;   in Loop: Header=BB48_102 Depth=1
	ds_write_b32 v8, v7
.LBB48_104:                             ;   in Loop: Header=BB48_102 Depth=1
	s_or_b64 exec, exec, s[26:27]
	s_and_saveexec_b64 s[18:19], vcc
	s_cbranch_execz .LBB48_106
; %bb.105:                              ;   in Loop: Header=BB48_102 Depth=1
	ds_write_b32 v8, v7 offset:148
.LBB48_106:                             ;   in Loop: Header=BB48_102 Depth=1
	s_or_b64 exec, exec, s[18:19]
	s_add_i32 s29, s28, 2
	s_add_i32 s18, s28, 3
	v_cmp_le_u32_e32 vcc, s18, v2
	v_cmp_le_u32_e64 s[18:19], s29, v2
	s_and_saveexec_b64 s[26:27], s[18:19]
	s_cbranch_execz .LBB48_108
; %bb.107:                              ;   in Loop: Header=BB48_102 Depth=1
	ds_write_b32 v6, v7
.LBB48_108:                             ;   in Loop: Header=BB48_102 Depth=1
	s_or_b64 exec, exec, s[26:27]
	s_and_saveexec_b64 s[18:19], vcc
	s_cbranch_execz .LBB48_110
; %bb.109:                              ;   in Loop: Header=BB48_102 Depth=1
	ds_write_b32 v6, v7 offset:148
.LBB48_110:                             ;   in Loop: Header=BB48_102 Depth=1
	s_or_b64 exec, exec, s[18:19]
	s_add_i32 s30, s29, 2
	s_add_i32 s29, s29, 3
	v_cmp_le_u32_e32 vcc, s29, v2
	v_cmp_le_u32_e64 s[18:19], s30, v2
	s_and_saveexec_b64 s[26:27], s[18:19]
	s_cbranch_execz .LBB48_112
; %bb.111:                              ;   in Loop: Header=BB48_102 Depth=1
	ds_write_b32 v6, v7 offset:296
.LBB48_112:                             ;   in Loop: Header=BB48_102 Depth=1
	s_or_b64 exec, exec, s[26:27]
	s_and_saveexec_b64 s[18:19], vcc
	s_cbranch_execz .LBB48_114
; %bb.113:                              ;   in Loop: Header=BB48_102 Depth=1
	ds_write_b32 v6, v7 offset:444
.LBB48_114:                             ;   in Loop: Header=BB48_102 Depth=1
	s_or_b64 exec, exec, s[18:19]
	s_add_i32 s29, s30, 2
	s_add_i32 s30, s30, 3
	v_cmp_le_u32_e32 vcc, s30, v2
	v_cmp_le_u32_e64 s[18:19], s29, v2
	s_and_saveexec_b64 s[26:27], s[18:19]
	s_cbranch_execz .LBB48_116
; %bb.115:                              ;   in Loop: Header=BB48_102 Depth=1
	ds_write_b32 v6, v7 offset:592
.LBB48_116:                             ;   in Loop: Header=BB48_102 Depth=1
	s_or_b64 exec, exec, s[26:27]
	s_and_saveexec_b64 s[18:19], vcc
	s_cbranch_execz .LBB48_101
; %bb.117:                              ;   in Loop: Header=BB48_102 Depth=1
	ds_write_b32 v6, v7 offset:740
	s_branch .LBB48_101
.LBB48_118:
	s_or_b64 exec, exec, s[24:25]
.LBB48_119:
	s_or_b64 exec, exec, s[22:23]
	v_and_b32_e32 v4, 3, v3
	v_cmp_ne_u32_e32 vcc, 0, v4
	s_and_b64 exec, exec, vcc
	s_cbranch_execz .LBB48_126
; %bb.120:
	s_movk_i32 s18, 0x94
	v_mul_lo_u32 v3, v5, s18
	v_add3_u32 v3, v17, v3, v15
	v_mul_u32_u24_e32 v4, 0x94, v4
	s_mov_b64 s[22:23], 0
	v_mov_b32_e32 v6, 0
	s_branch .LBB48_122
.LBB48_121:                             ;   in Loop: Header=BB48_122 Depth=1
	s_or_b64 exec, exec, s[18:19]
	v_add_u32_e32 v4, 0xffffff6c, v4
	v_cmp_eq_u32_e32 vcc, 0, v4
	v_add_u32_e32 v5, 2, v5
	s_or_b64 s[22:23], vcc, s[22:23]
	v_add_u32_e32 v3, 0x128, v3
	s_andn2_b64 exec, exec, s[22:23]
	s_cbranch_execz .LBB48_126
.LBB48_122:                             ; =>This Inner Loop Header: Depth=1
	v_or_b32_e32 v7, 1, v5
	v_cmp_le_u32_e32 vcc, v7, v2
	v_cmp_le_u32_e64 s[18:19], v5, v2
	s_and_saveexec_b64 s[24:25], s[18:19]
	s_cbranch_execz .LBB48_124
; %bb.123:                              ;   in Loop: Header=BB48_122 Depth=1
	ds_write_b32 v3, v6
.LBB48_124:                             ;   in Loop: Header=BB48_122 Depth=1
	s_or_b64 exec, exec, s[24:25]
	s_and_saveexec_b64 s[18:19], vcc
	s_cbranch_execz .LBB48_121
; %bb.125:                              ;   in Loop: Header=BB48_122 Depth=1
	ds_write_b32 v3, v6 offset:148
	s_branch .LBB48_121
.LBB48_126:
	s_or_b64 exec, exec, s[20:21]
	s_brev_b32 s18, -2
	v_lshrrev_b32_e32 v2, 8, v1
	v_mov_b32_e32 v3, 0x800000
	v_cmp_ne_u32_e32 vcc, s18, v1
	v_cndmask_b32_e32 v2, v3, v2, vcc
	v_and_b32_e32 v3, 7, v2
	v_lshrrev_b32_e32 v2, 2, v2
	v_mad_u32_u24 v3, v3, 37, v0
	v_and_b32_e32 v2, 2, v2
	v_lshl_or_b32 v20, v3, 2, v2
	ds_read_u16 v19, v20
	s_waitcnt lgkmcnt(0)
	v_add_u16_e32 v2, 1, v19
	ds_write_b16 v20, v2
	s_waitcnt lgkmcnt(0)
	; wave barrier
	s_waitcnt lgkmcnt(0)
	ds_read2_b64 v[6:9], v15 offset1:1
	ds_read2_b64 v[2:5], v15 offset0:2 offset1:3
	s_waitcnt lgkmcnt(1)
	v_add_u32_e32 v21, v7, v6
	v_add3_u32 v21, v21, v8, v9
	s_waitcnt lgkmcnt(0)
	v_add3_u32 v21, v21, v2, v3
	v_add3_u32 v5, v21, v4, v5
	s_nop 1
	v_mov_b32_dpp v21, v5 row_shr:1 row_mask:0xf bank_mask:0xf
	v_cndmask_b32_e64 v21, v21, 0, s[14:15]
	v_add_u32_e32 v5, v21, v5
	s_nop 1
	v_mov_b32_dpp v21, v5 row_shr:2 row_mask:0xf bank_mask:0xf
	v_cndmask_b32_e64 v21, 0, v21, s[12:13]
	v_add_u32_e32 v5, v5, v21
	;; [unrolled: 4-line block ×4, first 2 shown]
	s_nop 1
	v_mov_b32_dpp v21, v5 row_bcast:15 row_mask:0xf bank_mask:0xf
	v_cndmask_b32_e64 v21, v21, 0, s[6:7]
	v_add_u32_e32 v5, v5, v21
	s_nop 1
	v_mov_b32_dpp v21, v5 row_bcast:31 row_mask:0xf bank_mask:0xf
	v_cndmask_b32_e64 v21, 0, v21, s[4:5]
	v_add_u32_e32 v5, v5, v21
	s_and_saveexec_b64 s[18:19], s[2:3]
	s_cbranch_execz .LBB48_128
; %bb.127:
	v_mov_b32_e32 v21, 0
	ds_write_b32 v21, v5 offset:1184
.LBB48_128:
	s_or_b64 exec, exec, s[18:19]
	ds_bpermute_b32 v21, v16, v5
	v_mov_b32_e32 v5, 0
	s_waitcnt lgkmcnt(0)
	; wave barrier
	s_waitcnt lgkmcnt(0)
	ds_read_b32 v22, v5 offset:1184
	v_cndmask_b32_e64 v21, v21, 0, s[0:1]
	s_waitcnt lgkmcnt(0)
	v_lshl_add_u32 v22, v22, 16, v21
	v_add_u32_e32 v23, v22, v6
	v_add_u32_e32 v6, v23, v7
	;; [unrolled: 1-line block ×7, first 2 shown]
	ds_write2_b64 v15, v[22:23], v[6:7] offset1:1
	ds_write2_b64 v15, v[8:9], v[2:3] offset0:2 offset1:3
	s_waitcnt lgkmcnt(0)
	; wave barrier
	s_waitcnt lgkmcnt(0)
	ds_read_u16 v2, v20
	v_mov_b32_e32 v3, 2
	v_lshlrev_b32_sdwa v3, v3, v19 dst_sel:DWORD dst_unused:UNUSED_PAD src0_sel:DWORD src1_sel:WORD_0
	s_waitcnt lgkmcnt(0)
	; wave barrier
	s_waitcnt lgkmcnt(0)
	v_lshl_add_u32 v2, v2, 2, v3
	ds_write_b32 v2, v1
	s_waitcnt lgkmcnt(0)
	; wave barrier
	s_waitcnt lgkmcnt(0)
	ds_read_b32 v1, v14
	s_waitcnt lgkmcnt(0)
	; wave barrier
	s_waitcnt lgkmcnt(0)
	ds_write_b32 v2, v18
	s_waitcnt lgkmcnt(0)
	; wave barrier
	s_waitcnt lgkmcnt(0)
	ds_read_b32 v18, v14
	s_waitcnt lgkmcnt(0)
	; wave barrier
	s_waitcnt lgkmcnt(0)
	s_and_saveexec_b64 s[20:21], s[16:17]
	s_cbranch_execz .LBB48_156
; %bb.129:
	s_movk_i32 s18, 0x103
	v_bfrev_b32_e32 v3, -4.0
	v_cmp_gt_u32_e32 vcc, s18, v0
	v_subb_co_u32_e64 v3, s[18:19], v3, v0, vcc
	s_mov_b32 s18, 0xbacf914d
	v_sub_u32_e32 v2, 0x103, v0
	v_mul_hi_u32 v3, v3, s18
	v_subb_co_u32_e64 v2, s[18:19], v2, v3, vcc
	v_lshrrev_b32_e32 v2, 1, v2
	v_add_u32_e32 v2, v2, v3
	v_lshrrev_b32_e32 v2, 5, v2
	v_addc_co_u32_e32 v2, vcc, 0, v2, vcc
	v_lshrrev_b32_e32 v3, 1, v2
	s_mov_b32 s28, 0
	v_add_u32_e32 v3, 1, v3
	v_cmp_lt_u32_e32 vcc, 5, v2
	s_and_saveexec_b64 s[22:23], vcc
	s_cbranch_execz .LBB48_149
; %bb.130:
	v_mov_b32_e32 v5, 0x128
	v_and_b32_e32 v4, 0xffffffc, v3
	v_lshl_add_u32 v6, v0, 2, v5
	s_mov_b64 s[24:25], 0
	v_mov_b32_e32 v7, 0
	v_mov_b32_e32 v8, v14
	s_branch .LBB48_132
.LBB48_131:                             ;   in Loop: Header=BB48_132 Depth=1
	s_or_b64 exec, exec, s[18:19]
	v_add_u32_e32 v4, -4, v4
	s_add_i32 s18, s28, 8
	v_cmp_eq_u32_e32 vcc, 0, v4
	s_add_i32 s28, s29, 2
	v_add_u32_e32 v8, 0x4a0, v8
	v_add_u32_e32 v6, 0x4a0, v6
	s_or_b64 s[24:25], vcc, s[24:25]
	v_mov_b32_e32 v5, s18
	s_andn2_b64 exec, exec, s[24:25]
	s_cbranch_execz .LBB48_148
.LBB48_132:                             ; =>This Inner Loop Header: Depth=1
	s_or_b32 s18, s28, 1
	v_cmp_le_u32_e32 vcc, s18, v2
	v_cmp_le_u32_e64 s[18:19], s28, v2
	s_and_saveexec_b64 s[26:27], s[18:19]
	s_cbranch_execz .LBB48_134
; %bb.133:                              ;   in Loop: Header=BB48_132 Depth=1
	ds_write_b32 v8, v7
.LBB48_134:                             ;   in Loop: Header=BB48_132 Depth=1
	s_or_b64 exec, exec, s[26:27]
	s_and_saveexec_b64 s[18:19], vcc
	s_cbranch_execz .LBB48_136
; %bb.135:                              ;   in Loop: Header=BB48_132 Depth=1
	ds_write_b32 v8, v7 offset:148
.LBB48_136:                             ;   in Loop: Header=BB48_132 Depth=1
	s_or_b64 exec, exec, s[18:19]
	s_add_i32 s29, s28, 2
	s_add_i32 s18, s28, 3
	v_cmp_le_u32_e32 vcc, s18, v2
	v_cmp_le_u32_e64 s[18:19], s29, v2
	s_and_saveexec_b64 s[26:27], s[18:19]
	s_cbranch_execz .LBB48_138
; %bb.137:                              ;   in Loop: Header=BB48_132 Depth=1
	ds_write_b32 v6, v7
.LBB48_138:                             ;   in Loop: Header=BB48_132 Depth=1
	s_or_b64 exec, exec, s[26:27]
	s_and_saveexec_b64 s[18:19], vcc
	s_cbranch_execz .LBB48_140
; %bb.139:                              ;   in Loop: Header=BB48_132 Depth=1
	ds_write_b32 v6, v7 offset:148
.LBB48_140:                             ;   in Loop: Header=BB48_132 Depth=1
	s_or_b64 exec, exec, s[18:19]
	s_add_i32 s30, s29, 2
	s_add_i32 s29, s29, 3
	v_cmp_le_u32_e32 vcc, s29, v2
	v_cmp_le_u32_e64 s[18:19], s30, v2
	s_and_saveexec_b64 s[26:27], s[18:19]
	s_cbranch_execz .LBB48_142
; %bb.141:                              ;   in Loop: Header=BB48_132 Depth=1
	ds_write_b32 v6, v7 offset:296
.LBB48_142:                             ;   in Loop: Header=BB48_132 Depth=1
	s_or_b64 exec, exec, s[26:27]
	s_and_saveexec_b64 s[18:19], vcc
	s_cbranch_execz .LBB48_144
; %bb.143:                              ;   in Loop: Header=BB48_132 Depth=1
	ds_write_b32 v6, v7 offset:444
.LBB48_144:                             ;   in Loop: Header=BB48_132 Depth=1
	s_or_b64 exec, exec, s[18:19]
	s_add_i32 s29, s30, 2
	s_add_i32 s30, s30, 3
	v_cmp_le_u32_e32 vcc, s30, v2
	v_cmp_le_u32_e64 s[18:19], s29, v2
	s_and_saveexec_b64 s[26:27], s[18:19]
	s_cbranch_execz .LBB48_146
; %bb.145:                              ;   in Loop: Header=BB48_132 Depth=1
	ds_write_b32 v6, v7 offset:592
.LBB48_146:                             ;   in Loop: Header=BB48_132 Depth=1
	s_or_b64 exec, exec, s[26:27]
	s_and_saveexec_b64 s[18:19], vcc
	s_cbranch_execz .LBB48_131
; %bb.147:                              ;   in Loop: Header=BB48_132 Depth=1
	ds_write_b32 v6, v7 offset:740
	s_branch .LBB48_131
.LBB48_148:
	s_or_b64 exec, exec, s[24:25]
.LBB48_149:
	s_or_b64 exec, exec, s[22:23]
	v_and_b32_e32 v4, 3, v3
	v_cmp_ne_u32_e32 vcc, 0, v4
	s_and_b64 exec, exec, vcc
	s_cbranch_execz .LBB48_156
; %bb.150:
	s_movk_i32 s18, 0x94
	v_mul_lo_u32 v3, v5, s18
	v_add3_u32 v3, v17, v3, v15
	v_mul_u32_u24_e32 v4, 0x94, v4
	s_mov_b64 s[22:23], 0
	v_mov_b32_e32 v6, 0
	s_branch .LBB48_152
.LBB48_151:                             ;   in Loop: Header=BB48_152 Depth=1
	s_or_b64 exec, exec, s[18:19]
	v_add_u32_e32 v4, 0xffffff6c, v4
	v_cmp_eq_u32_e32 vcc, 0, v4
	v_add_u32_e32 v5, 2, v5
	s_or_b64 s[22:23], vcc, s[22:23]
	v_add_u32_e32 v3, 0x128, v3
	s_andn2_b64 exec, exec, s[22:23]
	s_cbranch_execz .LBB48_156
.LBB48_152:                             ; =>This Inner Loop Header: Depth=1
	v_or_b32_e32 v7, 1, v5
	v_cmp_le_u32_e32 vcc, v7, v2
	v_cmp_le_u32_e64 s[18:19], v5, v2
	s_and_saveexec_b64 s[24:25], s[18:19]
	s_cbranch_execz .LBB48_154
; %bb.153:                              ;   in Loop: Header=BB48_152 Depth=1
	ds_write_b32 v3, v6
.LBB48_154:                             ;   in Loop: Header=BB48_152 Depth=1
	s_or_b64 exec, exec, s[24:25]
	s_and_saveexec_b64 s[18:19], vcc
	s_cbranch_execz .LBB48_151
; %bb.155:                              ;   in Loop: Header=BB48_152 Depth=1
	ds_write_b32 v3, v6 offset:148
	s_branch .LBB48_151
.LBB48_156:
	s_or_b64 exec, exec, s[20:21]
	s_brev_b32 s18, -2
	v_lshrrev_b32_e32 v2, 12, v1
	v_mov_b32_e32 v3, 0x80000
	v_cmp_ne_u32_e32 vcc, s18, v1
	v_cndmask_b32_e32 v2, v3, v2, vcc
	v_and_b32_e32 v3, 7, v2
	v_lshrrev_b32_e32 v2, 2, v2
	v_mad_u32_u24 v3, v3, 37, v0
	v_and_b32_e32 v2, 2, v2
	v_lshl_or_b32 v20, v3, 2, v2
	ds_read_u16 v19, v20
	s_waitcnt lgkmcnt(0)
	v_add_u16_e32 v2, 1, v19
	ds_write_b16 v20, v2
	s_waitcnt lgkmcnt(0)
	; wave barrier
	s_waitcnt lgkmcnt(0)
	ds_read2_b64 v[6:9], v15 offset1:1
	ds_read2_b64 v[2:5], v15 offset0:2 offset1:3
	s_waitcnt lgkmcnt(1)
	v_add_u32_e32 v21, v7, v6
	v_add3_u32 v21, v21, v8, v9
	s_waitcnt lgkmcnt(0)
	v_add3_u32 v21, v21, v2, v3
	v_add3_u32 v5, v21, v4, v5
	s_nop 1
	v_mov_b32_dpp v21, v5 row_shr:1 row_mask:0xf bank_mask:0xf
	v_cndmask_b32_e64 v21, v21, 0, s[14:15]
	v_add_u32_e32 v5, v21, v5
	s_nop 1
	v_mov_b32_dpp v21, v5 row_shr:2 row_mask:0xf bank_mask:0xf
	v_cndmask_b32_e64 v21, 0, v21, s[12:13]
	v_add_u32_e32 v5, v5, v21
	;; [unrolled: 4-line block ×4, first 2 shown]
	s_nop 1
	v_mov_b32_dpp v21, v5 row_bcast:15 row_mask:0xf bank_mask:0xf
	v_cndmask_b32_e64 v21, v21, 0, s[6:7]
	v_add_u32_e32 v5, v5, v21
	s_nop 1
	v_mov_b32_dpp v21, v5 row_bcast:31 row_mask:0xf bank_mask:0xf
	v_cndmask_b32_e64 v21, 0, v21, s[4:5]
	v_add_u32_e32 v5, v5, v21
	s_and_saveexec_b64 s[18:19], s[2:3]
	s_cbranch_execz .LBB48_158
; %bb.157:
	v_mov_b32_e32 v21, 0
	ds_write_b32 v21, v5 offset:1184
.LBB48_158:
	s_or_b64 exec, exec, s[18:19]
	ds_bpermute_b32 v21, v16, v5
	v_mov_b32_e32 v5, 0
	s_waitcnt lgkmcnt(0)
	; wave barrier
	s_waitcnt lgkmcnt(0)
	ds_read_b32 v22, v5 offset:1184
	v_cndmask_b32_e64 v21, v21, 0, s[0:1]
	s_waitcnt lgkmcnt(0)
	v_lshl_add_u32 v22, v22, 16, v21
	v_add_u32_e32 v23, v22, v6
	v_add_u32_e32 v6, v23, v7
	;; [unrolled: 1-line block ×7, first 2 shown]
	ds_write2_b64 v15, v[22:23], v[6:7] offset1:1
	ds_write2_b64 v15, v[8:9], v[2:3] offset0:2 offset1:3
	s_waitcnt lgkmcnt(0)
	; wave barrier
	s_waitcnt lgkmcnt(0)
	ds_read_u16 v2, v20
	v_mov_b32_e32 v3, 2
	v_lshlrev_b32_sdwa v3, v3, v19 dst_sel:DWORD dst_unused:UNUSED_PAD src0_sel:DWORD src1_sel:WORD_0
	s_waitcnt lgkmcnt(0)
	; wave barrier
	s_waitcnt lgkmcnt(0)
	v_lshl_add_u32 v2, v2, 2, v3
	ds_write_b32 v2, v1
	s_waitcnt lgkmcnt(0)
	; wave barrier
	s_waitcnt lgkmcnt(0)
	ds_read_b32 v1, v14
	s_waitcnt lgkmcnt(0)
	; wave barrier
	s_waitcnt lgkmcnt(0)
	ds_write_b32 v2, v18
	s_waitcnt lgkmcnt(0)
	; wave barrier
	s_waitcnt lgkmcnt(0)
	ds_read_b32 v18, v14
	s_waitcnt lgkmcnt(0)
	; wave barrier
	s_waitcnt lgkmcnt(0)
	s_and_saveexec_b64 s[20:21], s[16:17]
	s_cbranch_execz .LBB48_186
; %bb.159:
	s_movk_i32 s18, 0x103
	v_bfrev_b32_e32 v3, -4.0
	v_cmp_gt_u32_e32 vcc, s18, v0
	v_subb_co_u32_e64 v3, s[18:19], v3, v0, vcc
	s_mov_b32 s18, 0xbacf914d
	v_sub_u32_e32 v2, 0x103, v0
	v_mul_hi_u32 v3, v3, s18
	v_subb_co_u32_e64 v2, s[18:19], v2, v3, vcc
	v_lshrrev_b32_e32 v2, 1, v2
	v_add_u32_e32 v2, v2, v3
	v_lshrrev_b32_e32 v2, 5, v2
	v_addc_co_u32_e32 v2, vcc, 0, v2, vcc
	v_lshrrev_b32_e32 v3, 1, v2
	s_mov_b32 s28, 0
	v_add_u32_e32 v3, 1, v3
	v_cmp_lt_u32_e32 vcc, 5, v2
	s_and_saveexec_b64 s[22:23], vcc
	s_cbranch_execz .LBB48_179
; %bb.160:
	v_mov_b32_e32 v5, 0x128
	v_and_b32_e32 v4, 0xffffffc, v3
	v_lshl_add_u32 v6, v0, 2, v5
	s_mov_b64 s[24:25], 0
	v_mov_b32_e32 v7, 0
	v_mov_b32_e32 v8, v14
	s_branch .LBB48_162
.LBB48_161:                             ;   in Loop: Header=BB48_162 Depth=1
	s_or_b64 exec, exec, s[18:19]
	v_add_u32_e32 v4, -4, v4
	s_add_i32 s18, s28, 8
	v_cmp_eq_u32_e32 vcc, 0, v4
	s_add_i32 s28, s29, 2
	v_add_u32_e32 v8, 0x4a0, v8
	v_add_u32_e32 v6, 0x4a0, v6
	s_or_b64 s[24:25], vcc, s[24:25]
	v_mov_b32_e32 v5, s18
	s_andn2_b64 exec, exec, s[24:25]
	s_cbranch_execz .LBB48_178
.LBB48_162:                             ; =>This Inner Loop Header: Depth=1
	s_or_b32 s18, s28, 1
	v_cmp_le_u32_e32 vcc, s18, v2
	v_cmp_le_u32_e64 s[18:19], s28, v2
	s_and_saveexec_b64 s[26:27], s[18:19]
	s_cbranch_execz .LBB48_164
; %bb.163:                              ;   in Loop: Header=BB48_162 Depth=1
	ds_write_b32 v8, v7
.LBB48_164:                             ;   in Loop: Header=BB48_162 Depth=1
	s_or_b64 exec, exec, s[26:27]
	s_and_saveexec_b64 s[18:19], vcc
	s_cbranch_execz .LBB48_166
; %bb.165:                              ;   in Loop: Header=BB48_162 Depth=1
	ds_write_b32 v8, v7 offset:148
.LBB48_166:                             ;   in Loop: Header=BB48_162 Depth=1
	s_or_b64 exec, exec, s[18:19]
	s_add_i32 s29, s28, 2
	s_add_i32 s18, s28, 3
	v_cmp_le_u32_e32 vcc, s18, v2
	v_cmp_le_u32_e64 s[18:19], s29, v2
	s_and_saveexec_b64 s[26:27], s[18:19]
	s_cbranch_execz .LBB48_168
; %bb.167:                              ;   in Loop: Header=BB48_162 Depth=1
	ds_write_b32 v6, v7
.LBB48_168:                             ;   in Loop: Header=BB48_162 Depth=1
	s_or_b64 exec, exec, s[26:27]
	s_and_saveexec_b64 s[18:19], vcc
	s_cbranch_execz .LBB48_170
; %bb.169:                              ;   in Loop: Header=BB48_162 Depth=1
	ds_write_b32 v6, v7 offset:148
.LBB48_170:                             ;   in Loop: Header=BB48_162 Depth=1
	s_or_b64 exec, exec, s[18:19]
	s_add_i32 s30, s29, 2
	s_add_i32 s29, s29, 3
	v_cmp_le_u32_e32 vcc, s29, v2
	v_cmp_le_u32_e64 s[18:19], s30, v2
	s_and_saveexec_b64 s[26:27], s[18:19]
	s_cbranch_execz .LBB48_172
; %bb.171:                              ;   in Loop: Header=BB48_162 Depth=1
	ds_write_b32 v6, v7 offset:296
.LBB48_172:                             ;   in Loop: Header=BB48_162 Depth=1
	s_or_b64 exec, exec, s[26:27]
	s_and_saveexec_b64 s[18:19], vcc
	s_cbranch_execz .LBB48_174
; %bb.173:                              ;   in Loop: Header=BB48_162 Depth=1
	ds_write_b32 v6, v7 offset:444
.LBB48_174:                             ;   in Loop: Header=BB48_162 Depth=1
	s_or_b64 exec, exec, s[18:19]
	s_add_i32 s29, s30, 2
	s_add_i32 s30, s30, 3
	v_cmp_le_u32_e32 vcc, s30, v2
	v_cmp_le_u32_e64 s[18:19], s29, v2
	s_and_saveexec_b64 s[26:27], s[18:19]
	s_cbranch_execz .LBB48_176
; %bb.175:                              ;   in Loop: Header=BB48_162 Depth=1
	ds_write_b32 v6, v7 offset:592
.LBB48_176:                             ;   in Loop: Header=BB48_162 Depth=1
	s_or_b64 exec, exec, s[26:27]
	s_and_saveexec_b64 s[18:19], vcc
	s_cbranch_execz .LBB48_161
; %bb.177:                              ;   in Loop: Header=BB48_162 Depth=1
	ds_write_b32 v6, v7 offset:740
	s_branch .LBB48_161
.LBB48_178:
	s_or_b64 exec, exec, s[24:25]
.LBB48_179:
	s_or_b64 exec, exec, s[22:23]
	v_and_b32_e32 v4, 3, v3
	v_cmp_ne_u32_e32 vcc, 0, v4
	s_and_b64 exec, exec, vcc
	s_cbranch_execz .LBB48_186
; %bb.180:
	s_movk_i32 s18, 0x94
	v_mul_lo_u32 v3, v5, s18
	v_add3_u32 v3, v17, v3, v15
	v_mul_u32_u24_e32 v4, 0x94, v4
	s_mov_b64 s[22:23], 0
	v_mov_b32_e32 v6, 0
	s_branch .LBB48_182
.LBB48_181:                             ;   in Loop: Header=BB48_182 Depth=1
	s_or_b64 exec, exec, s[18:19]
	v_add_u32_e32 v4, 0xffffff6c, v4
	v_cmp_eq_u32_e32 vcc, 0, v4
	v_add_u32_e32 v5, 2, v5
	s_or_b64 s[22:23], vcc, s[22:23]
	v_add_u32_e32 v3, 0x128, v3
	s_andn2_b64 exec, exec, s[22:23]
	s_cbranch_execz .LBB48_186
.LBB48_182:                             ; =>This Inner Loop Header: Depth=1
	v_or_b32_e32 v7, 1, v5
	v_cmp_le_u32_e32 vcc, v7, v2
	v_cmp_le_u32_e64 s[18:19], v5, v2
	s_and_saveexec_b64 s[24:25], s[18:19]
	s_cbranch_execz .LBB48_184
; %bb.183:                              ;   in Loop: Header=BB48_182 Depth=1
	ds_write_b32 v3, v6
.LBB48_184:                             ;   in Loop: Header=BB48_182 Depth=1
	s_or_b64 exec, exec, s[24:25]
	s_and_saveexec_b64 s[18:19], vcc
	s_cbranch_execz .LBB48_181
; %bb.185:                              ;   in Loop: Header=BB48_182 Depth=1
	ds_write_b32 v3, v6 offset:148
	s_branch .LBB48_181
.LBB48_186:
	s_or_b64 exec, exec, s[20:21]
	s_brev_b32 s18, -2
	v_lshrrev_b32_e32 v2, 16, v1
	v_mov_b32_e32 v3, 0x8000
	v_cmp_ne_u32_e32 vcc, s18, v1
	v_cndmask_b32_e32 v2, v3, v2, vcc
	v_and_b32_e32 v3, 7, v2
	v_lshrrev_b32_e32 v2, 2, v2
	v_mad_u32_u24 v3, v3, 37, v0
	v_and_b32_e32 v2, 2, v2
	v_lshl_or_b32 v20, v3, 2, v2
	ds_read_u16 v19, v20
	s_waitcnt lgkmcnt(0)
	v_add_u16_e32 v2, 1, v19
	ds_write_b16 v20, v2
	s_waitcnt lgkmcnt(0)
	; wave barrier
	s_waitcnt lgkmcnt(0)
	ds_read2_b64 v[6:9], v15 offset1:1
	ds_read2_b64 v[2:5], v15 offset0:2 offset1:3
	s_waitcnt lgkmcnt(1)
	v_add_u32_e32 v21, v7, v6
	v_add3_u32 v21, v21, v8, v9
	s_waitcnt lgkmcnt(0)
	v_add3_u32 v21, v21, v2, v3
	v_add3_u32 v5, v21, v4, v5
	s_nop 1
	v_mov_b32_dpp v21, v5 row_shr:1 row_mask:0xf bank_mask:0xf
	v_cndmask_b32_e64 v21, v21, 0, s[14:15]
	v_add_u32_e32 v5, v21, v5
	s_nop 1
	v_mov_b32_dpp v21, v5 row_shr:2 row_mask:0xf bank_mask:0xf
	v_cndmask_b32_e64 v21, 0, v21, s[12:13]
	v_add_u32_e32 v5, v5, v21
	;; [unrolled: 4-line block ×4, first 2 shown]
	s_nop 1
	v_mov_b32_dpp v21, v5 row_bcast:15 row_mask:0xf bank_mask:0xf
	v_cndmask_b32_e64 v21, v21, 0, s[6:7]
	v_add_u32_e32 v5, v5, v21
	s_nop 1
	v_mov_b32_dpp v21, v5 row_bcast:31 row_mask:0xf bank_mask:0xf
	v_cndmask_b32_e64 v21, 0, v21, s[4:5]
	v_add_u32_e32 v5, v5, v21
	s_and_saveexec_b64 s[18:19], s[2:3]
	s_cbranch_execz .LBB48_188
; %bb.187:
	v_mov_b32_e32 v21, 0
	ds_write_b32 v21, v5 offset:1184
.LBB48_188:
	s_or_b64 exec, exec, s[18:19]
	ds_bpermute_b32 v21, v16, v5
	v_mov_b32_e32 v5, 0
	s_waitcnt lgkmcnt(0)
	; wave barrier
	s_waitcnt lgkmcnt(0)
	ds_read_b32 v22, v5 offset:1184
	v_cndmask_b32_e64 v21, v21, 0, s[0:1]
	s_waitcnt lgkmcnt(0)
	v_lshl_add_u32 v22, v22, 16, v21
	v_add_u32_e32 v23, v22, v6
	v_add_u32_e32 v6, v23, v7
	;; [unrolled: 1-line block ×7, first 2 shown]
	ds_write2_b64 v15, v[22:23], v[6:7] offset1:1
	ds_write2_b64 v15, v[8:9], v[2:3] offset0:2 offset1:3
	s_waitcnt lgkmcnt(0)
	; wave barrier
	s_waitcnt lgkmcnt(0)
	ds_read_u16 v2, v20
	v_mov_b32_e32 v3, 2
	v_lshlrev_b32_sdwa v3, v3, v19 dst_sel:DWORD dst_unused:UNUSED_PAD src0_sel:DWORD src1_sel:WORD_0
	s_waitcnt lgkmcnt(0)
	; wave barrier
	s_waitcnt lgkmcnt(0)
	v_lshl_add_u32 v2, v2, 2, v3
	ds_write_b32 v2, v1
	s_waitcnt lgkmcnt(0)
	; wave barrier
	s_waitcnt lgkmcnt(0)
	ds_read_b32 v1, v14
	s_waitcnt lgkmcnt(0)
	; wave barrier
	s_waitcnt lgkmcnt(0)
	ds_write_b32 v2, v18
	s_waitcnt lgkmcnt(0)
	; wave barrier
	s_waitcnt lgkmcnt(0)
	ds_read_b32 v18, v14
	s_waitcnt lgkmcnt(0)
	; wave barrier
	s_waitcnt lgkmcnt(0)
	s_and_saveexec_b64 s[20:21], s[16:17]
	s_cbranch_execz .LBB48_216
; %bb.189:
	s_movk_i32 s18, 0x103
	v_bfrev_b32_e32 v3, -4.0
	v_cmp_gt_u32_e32 vcc, s18, v0
	v_subb_co_u32_e64 v3, s[18:19], v3, v0, vcc
	s_mov_b32 s18, 0xbacf914d
	v_sub_u32_e32 v2, 0x103, v0
	v_mul_hi_u32 v3, v3, s18
	v_subb_co_u32_e64 v2, s[18:19], v2, v3, vcc
	v_lshrrev_b32_e32 v2, 1, v2
	v_add_u32_e32 v2, v2, v3
	v_lshrrev_b32_e32 v2, 5, v2
	v_addc_co_u32_e32 v2, vcc, 0, v2, vcc
	v_lshrrev_b32_e32 v3, 1, v2
	s_mov_b32 s28, 0
	v_add_u32_e32 v3, 1, v3
	v_cmp_lt_u32_e32 vcc, 5, v2
	s_and_saveexec_b64 s[22:23], vcc
	s_cbranch_execz .LBB48_209
; %bb.190:
	v_mov_b32_e32 v5, 0x128
	v_and_b32_e32 v4, 0xffffffc, v3
	v_lshl_add_u32 v6, v0, 2, v5
	s_mov_b64 s[24:25], 0
	v_mov_b32_e32 v7, 0
	v_mov_b32_e32 v8, v14
	s_branch .LBB48_192
.LBB48_191:                             ;   in Loop: Header=BB48_192 Depth=1
	s_or_b64 exec, exec, s[18:19]
	v_add_u32_e32 v4, -4, v4
	s_add_i32 s18, s28, 8
	v_cmp_eq_u32_e32 vcc, 0, v4
	s_add_i32 s28, s29, 2
	v_add_u32_e32 v8, 0x4a0, v8
	v_add_u32_e32 v6, 0x4a0, v6
	s_or_b64 s[24:25], vcc, s[24:25]
	v_mov_b32_e32 v5, s18
	s_andn2_b64 exec, exec, s[24:25]
	s_cbranch_execz .LBB48_208
.LBB48_192:                             ; =>This Inner Loop Header: Depth=1
	s_or_b32 s18, s28, 1
	v_cmp_le_u32_e32 vcc, s18, v2
	v_cmp_le_u32_e64 s[18:19], s28, v2
	s_and_saveexec_b64 s[26:27], s[18:19]
	s_cbranch_execz .LBB48_194
; %bb.193:                              ;   in Loop: Header=BB48_192 Depth=1
	ds_write_b32 v8, v7
.LBB48_194:                             ;   in Loop: Header=BB48_192 Depth=1
	s_or_b64 exec, exec, s[26:27]
	s_and_saveexec_b64 s[18:19], vcc
	s_cbranch_execz .LBB48_196
; %bb.195:                              ;   in Loop: Header=BB48_192 Depth=1
	ds_write_b32 v8, v7 offset:148
.LBB48_196:                             ;   in Loop: Header=BB48_192 Depth=1
	s_or_b64 exec, exec, s[18:19]
	s_add_i32 s29, s28, 2
	s_add_i32 s18, s28, 3
	v_cmp_le_u32_e32 vcc, s18, v2
	v_cmp_le_u32_e64 s[18:19], s29, v2
	s_and_saveexec_b64 s[26:27], s[18:19]
	s_cbranch_execz .LBB48_198
; %bb.197:                              ;   in Loop: Header=BB48_192 Depth=1
	ds_write_b32 v6, v7
.LBB48_198:                             ;   in Loop: Header=BB48_192 Depth=1
	s_or_b64 exec, exec, s[26:27]
	s_and_saveexec_b64 s[18:19], vcc
	s_cbranch_execz .LBB48_200
; %bb.199:                              ;   in Loop: Header=BB48_192 Depth=1
	ds_write_b32 v6, v7 offset:148
.LBB48_200:                             ;   in Loop: Header=BB48_192 Depth=1
	s_or_b64 exec, exec, s[18:19]
	s_add_i32 s30, s29, 2
	s_add_i32 s29, s29, 3
	v_cmp_le_u32_e32 vcc, s29, v2
	v_cmp_le_u32_e64 s[18:19], s30, v2
	s_and_saveexec_b64 s[26:27], s[18:19]
	s_cbranch_execz .LBB48_202
; %bb.201:                              ;   in Loop: Header=BB48_192 Depth=1
	ds_write_b32 v6, v7 offset:296
.LBB48_202:                             ;   in Loop: Header=BB48_192 Depth=1
	s_or_b64 exec, exec, s[26:27]
	s_and_saveexec_b64 s[18:19], vcc
	s_cbranch_execz .LBB48_204
; %bb.203:                              ;   in Loop: Header=BB48_192 Depth=1
	ds_write_b32 v6, v7 offset:444
.LBB48_204:                             ;   in Loop: Header=BB48_192 Depth=1
	s_or_b64 exec, exec, s[18:19]
	s_add_i32 s29, s30, 2
	s_add_i32 s30, s30, 3
	v_cmp_le_u32_e32 vcc, s30, v2
	v_cmp_le_u32_e64 s[18:19], s29, v2
	s_and_saveexec_b64 s[26:27], s[18:19]
	s_cbranch_execz .LBB48_206
; %bb.205:                              ;   in Loop: Header=BB48_192 Depth=1
	ds_write_b32 v6, v7 offset:592
.LBB48_206:                             ;   in Loop: Header=BB48_192 Depth=1
	s_or_b64 exec, exec, s[26:27]
	s_and_saveexec_b64 s[18:19], vcc
	s_cbranch_execz .LBB48_191
; %bb.207:                              ;   in Loop: Header=BB48_192 Depth=1
	ds_write_b32 v6, v7 offset:740
	s_branch .LBB48_191
.LBB48_208:
	s_or_b64 exec, exec, s[24:25]
.LBB48_209:
	s_or_b64 exec, exec, s[22:23]
	v_and_b32_e32 v4, 3, v3
	v_cmp_ne_u32_e32 vcc, 0, v4
	s_and_b64 exec, exec, vcc
	s_cbranch_execz .LBB48_216
; %bb.210:
	s_movk_i32 s18, 0x94
	v_mul_lo_u32 v3, v5, s18
	v_add3_u32 v3, v17, v3, v15
	v_mul_u32_u24_e32 v4, 0x94, v4
	s_mov_b64 s[22:23], 0
	v_mov_b32_e32 v6, 0
	s_branch .LBB48_212
.LBB48_211:                             ;   in Loop: Header=BB48_212 Depth=1
	s_or_b64 exec, exec, s[18:19]
	v_add_u32_e32 v4, 0xffffff6c, v4
	v_cmp_eq_u32_e32 vcc, 0, v4
	v_add_u32_e32 v5, 2, v5
	s_or_b64 s[22:23], vcc, s[22:23]
	v_add_u32_e32 v3, 0x128, v3
	s_andn2_b64 exec, exec, s[22:23]
	s_cbranch_execz .LBB48_216
.LBB48_212:                             ; =>This Inner Loop Header: Depth=1
	v_or_b32_e32 v7, 1, v5
	v_cmp_le_u32_e32 vcc, v7, v2
	v_cmp_le_u32_e64 s[18:19], v5, v2
	s_and_saveexec_b64 s[24:25], s[18:19]
	s_cbranch_execz .LBB48_214
; %bb.213:                              ;   in Loop: Header=BB48_212 Depth=1
	ds_write_b32 v3, v6
.LBB48_214:                             ;   in Loop: Header=BB48_212 Depth=1
	s_or_b64 exec, exec, s[24:25]
	s_and_saveexec_b64 s[18:19], vcc
	s_cbranch_execz .LBB48_211
; %bb.215:                              ;   in Loop: Header=BB48_212 Depth=1
	ds_write_b32 v3, v6 offset:148
	s_branch .LBB48_211
.LBB48_216:
	s_or_b64 exec, exec, s[20:21]
	s_brev_b32 s18, -2
	v_lshrrev_b32_e32 v2, 20, v1
	v_mov_b32_e32 v3, 0x800
	v_cmp_ne_u32_e32 vcc, s18, v1
	v_cndmask_b32_e32 v2, v3, v2, vcc
	v_and_b32_e32 v3, 7, v2
	v_lshrrev_b32_e32 v2, 2, v2
	v_mad_u32_u24 v3, v3, 37, v0
	v_and_b32_e32 v2, 2, v2
	v_lshl_or_b32 v20, v3, 2, v2
	ds_read_u16 v19, v20
	s_waitcnt lgkmcnt(0)
	v_add_u16_e32 v2, 1, v19
	ds_write_b16 v20, v2
	s_waitcnt lgkmcnt(0)
	; wave barrier
	s_waitcnt lgkmcnt(0)
	ds_read2_b64 v[6:9], v15 offset1:1
	ds_read2_b64 v[2:5], v15 offset0:2 offset1:3
	s_waitcnt lgkmcnt(1)
	v_add_u32_e32 v21, v7, v6
	v_add3_u32 v21, v21, v8, v9
	s_waitcnt lgkmcnt(0)
	v_add3_u32 v21, v21, v2, v3
	v_add3_u32 v5, v21, v4, v5
	s_nop 1
	v_mov_b32_dpp v21, v5 row_shr:1 row_mask:0xf bank_mask:0xf
	v_cndmask_b32_e64 v21, v21, 0, s[14:15]
	v_add_u32_e32 v5, v21, v5
	s_nop 1
	v_mov_b32_dpp v21, v5 row_shr:2 row_mask:0xf bank_mask:0xf
	v_cndmask_b32_e64 v21, 0, v21, s[12:13]
	v_add_u32_e32 v5, v5, v21
	;; [unrolled: 4-line block ×4, first 2 shown]
	s_nop 1
	v_mov_b32_dpp v21, v5 row_bcast:15 row_mask:0xf bank_mask:0xf
	v_cndmask_b32_e64 v21, v21, 0, s[6:7]
	v_add_u32_e32 v5, v5, v21
	s_nop 1
	v_mov_b32_dpp v21, v5 row_bcast:31 row_mask:0xf bank_mask:0xf
	v_cndmask_b32_e64 v21, 0, v21, s[4:5]
	v_add_u32_e32 v5, v5, v21
	s_and_saveexec_b64 s[18:19], s[2:3]
	s_cbranch_execz .LBB48_218
; %bb.217:
	v_mov_b32_e32 v21, 0
	ds_write_b32 v21, v5 offset:1184
.LBB48_218:
	s_or_b64 exec, exec, s[18:19]
	ds_bpermute_b32 v21, v16, v5
	v_mov_b32_e32 v5, 0
	s_waitcnt lgkmcnt(0)
	; wave barrier
	s_waitcnt lgkmcnt(0)
	ds_read_b32 v22, v5 offset:1184
	v_cndmask_b32_e64 v21, v21, 0, s[0:1]
	s_waitcnt lgkmcnt(0)
	v_lshl_add_u32 v22, v22, 16, v21
	v_add_u32_e32 v23, v22, v6
	v_add_u32_e32 v6, v23, v7
	;; [unrolled: 1-line block ×7, first 2 shown]
	ds_write2_b64 v15, v[22:23], v[6:7] offset1:1
	ds_write2_b64 v15, v[8:9], v[2:3] offset0:2 offset1:3
	s_waitcnt lgkmcnt(0)
	; wave barrier
	s_waitcnt lgkmcnt(0)
	ds_read_u16 v2, v20
	v_mov_b32_e32 v3, 2
	v_lshlrev_b32_sdwa v3, v3, v19 dst_sel:DWORD dst_unused:UNUSED_PAD src0_sel:DWORD src1_sel:WORD_0
	s_waitcnt lgkmcnt(0)
	; wave barrier
	s_waitcnt lgkmcnt(0)
	v_lshl_add_u32 v2, v2, 2, v3
	ds_write_b32 v2, v1
	s_waitcnt lgkmcnt(0)
	; wave barrier
	s_waitcnt lgkmcnt(0)
	ds_read_b32 v1, v14
	s_waitcnt lgkmcnt(0)
	; wave barrier
	s_waitcnt lgkmcnt(0)
	ds_write_b32 v2, v18
	s_waitcnt lgkmcnt(0)
	; wave barrier
	s_waitcnt lgkmcnt(0)
	ds_read_b32 v18, v14
	s_waitcnt lgkmcnt(0)
	; wave barrier
	s_waitcnt lgkmcnt(0)
	s_and_saveexec_b64 s[20:21], s[16:17]
	s_cbranch_execz .LBB48_246
; %bb.219:
	s_movk_i32 s18, 0x103
	v_bfrev_b32_e32 v3, -4.0
	v_cmp_gt_u32_e32 vcc, s18, v0
	v_subb_co_u32_e64 v3, s[18:19], v3, v0, vcc
	s_mov_b32 s18, 0xbacf914d
	v_sub_u32_e32 v2, 0x103, v0
	v_mul_hi_u32 v3, v3, s18
	v_subb_co_u32_e64 v2, s[18:19], v2, v3, vcc
	v_lshrrev_b32_e32 v2, 1, v2
	v_add_u32_e32 v2, v2, v3
	v_lshrrev_b32_e32 v2, 5, v2
	v_addc_co_u32_e32 v2, vcc, 0, v2, vcc
	v_lshrrev_b32_e32 v3, 1, v2
	s_mov_b32 s28, 0
	v_add_u32_e32 v3, 1, v3
	v_cmp_lt_u32_e32 vcc, 5, v2
	s_and_saveexec_b64 s[22:23], vcc
	s_cbranch_execz .LBB48_239
; %bb.220:
	v_mov_b32_e32 v5, 0x128
	v_and_b32_e32 v4, 0xffffffc, v3
	v_lshl_add_u32 v6, v0, 2, v5
	s_mov_b64 s[24:25], 0
	v_mov_b32_e32 v7, 0
	v_mov_b32_e32 v8, v14
	s_branch .LBB48_222
.LBB48_221:                             ;   in Loop: Header=BB48_222 Depth=1
	s_or_b64 exec, exec, s[18:19]
	v_add_u32_e32 v4, -4, v4
	s_add_i32 s18, s28, 8
	v_cmp_eq_u32_e32 vcc, 0, v4
	s_add_i32 s28, s29, 2
	v_add_u32_e32 v8, 0x4a0, v8
	v_add_u32_e32 v6, 0x4a0, v6
	s_or_b64 s[24:25], vcc, s[24:25]
	v_mov_b32_e32 v5, s18
	s_andn2_b64 exec, exec, s[24:25]
	s_cbranch_execz .LBB48_238
.LBB48_222:                             ; =>This Inner Loop Header: Depth=1
	s_or_b32 s18, s28, 1
	v_cmp_le_u32_e32 vcc, s18, v2
	v_cmp_le_u32_e64 s[18:19], s28, v2
	s_and_saveexec_b64 s[26:27], s[18:19]
	s_cbranch_execz .LBB48_224
; %bb.223:                              ;   in Loop: Header=BB48_222 Depth=1
	ds_write_b32 v8, v7
.LBB48_224:                             ;   in Loop: Header=BB48_222 Depth=1
	s_or_b64 exec, exec, s[26:27]
	s_and_saveexec_b64 s[18:19], vcc
	s_cbranch_execz .LBB48_226
; %bb.225:                              ;   in Loop: Header=BB48_222 Depth=1
	ds_write_b32 v8, v7 offset:148
.LBB48_226:                             ;   in Loop: Header=BB48_222 Depth=1
	s_or_b64 exec, exec, s[18:19]
	s_add_i32 s29, s28, 2
	s_add_i32 s18, s28, 3
	v_cmp_le_u32_e32 vcc, s18, v2
	v_cmp_le_u32_e64 s[18:19], s29, v2
	s_and_saveexec_b64 s[26:27], s[18:19]
	s_cbranch_execz .LBB48_228
; %bb.227:                              ;   in Loop: Header=BB48_222 Depth=1
	ds_write_b32 v6, v7
.LBB48_228:                             ;   in Loop: Header=BB48_222 Depth=1
	s_or_b64 exec, exec, s[26:27]
	s_and_saveexec_b64 s[18:19], vcc
	s_cbranch_execz .LBB48_230
; %bb.229:                              ;   in Loop: Header=BB48_222 Depth=1
	ds_write_b32 v6, v7 offset:148
.LBB48_230:                             ;   in Loop: Header=BB48_222 Depth=1
	s_or_b64 exec, exec, s[18:19]
	s_add_i32 s30, s29, 2
	s_add_i32 s29, s29, 3
	v_cmp_le_u32_e32 vcc, s29, v2
	v_cmp_le_u32_e64 s[18:19], s30, v2
	s_and_saveexec_b64 s[26:27], s[18:19]
	s_cbranch_execz .LBB48_232
; %bb.231:                              ;   in Loop: Header=BB48_222 Depth=1
	ds_write_b32 v6, v7 offset:296
.LBB48_232:                             ;   in Loop: Header=BB48_222 Depth=1
	s_or_b64 exec, exec, s[26:27]
	s_and_saveexec_b64 s[18:19], vcc
	s_cbranch_execz .LBB48_234
; %bb.233:                              ;   in Loop: Header=BB48_222 Depth=1
	ds_write_b32 v6, v7 offset:444
.LBB48_234:                             ;   in Loop: Header=BB48_222 Depth=1
	s_or_b64 exec, exec, s[18:19]
	s_add_i32 s29, s30, 2
	s_add_i32 s30, s30, 3
	v_cmp_le_u32_e32 vcc, s30, v2
	v_cmp_le_u32_e64 s[18:19], s29, v2
	s_and_saveexec_b64 s[26:27], s[18:19]
	s_cbranch_execz .LBB48_236
; %bb.235:                              ;   in Loop: Header=BB48_222 Depth=1
	ds_write_b32 v6, v7 offset:592
.LBB48_236:                             ;   in Loop: Header=BB48_222 Depth=1
	s_or_b64 exec, exec, s[26:27]
	s_and_saveexec_b64 s[18:19], vcc
	s_cbranch_execz .LBB48_221
; %bb.237:                              ;   in Loop: Header=BB48_222 Depth=1
	ds_write_b32 v6, v7 offset:740
	s_branch .LBB48_221
.LBB48_238:
	s_or_b64 exec, exec, s[24:25]
.LBB48_239:
	s_or_b64 exec, exec, s[22:23]
	v_and_b32_e32 v4, 3, v3
	v_cmp_ne_u32_e32 vcc, 0, v4
	s_and_b64 exec, exec, vcc
	s_cbranch_execz .LBB48_246
; %bb.240:
	s_movk_i32 s18, 0x94
	v_mul_lo_u32 v3, v5, s18
	v_add3_u32 v3, v17, v3, v15
	v_mul_u32_u24_e32 v4, 0x94, v4
	s_mov_b64 s[22:23], 0
	v_mov_b32_e32 v6, 0
	s_branch .LBB48_242
.LBB48_241:                             ;   in Loop: Header=BB48_242 Depth=1
	s_or_b64 exec, exec, s[18:19]
	v_add_u32_e32 v4, 0xffffff6c, v4
	v_cmp_eq_u32_e32 vcc, 0, v4
	v_add_u32_e32 v5, 2, v5
	s_or_b64 s[22:23], vcc, s[22:23]
	v_add_u32_e32 v3, 0x128, v3
	s_andn2_b64 exec, exec, s[22:23]
	s_cbranch_execz .LBB48_246
.LBB48_242:                             ; =>This Inner Loop Header: Depth=1
	v_or_b32_e32 v7, 1, v5
	v_cmp_le_u32_e32 vcc, v7, v2
	v_cmp_le_u32_e64 s[18:19], v5, v2
	s_and_saveexec_b64 s[24:25], s[18:19]
	s_cbranch_execz .LBB48_244
; %bb.243:                              ;   in Loop: Header=BB48_242 Depth=1
	ds_write_b32 v3, v6
.LBB48_244:                             ;   in Loop: Header=BB48_242 Depth=1
	s_or_b64 exec, exec, s[24:25]
	s_and_saveexec_b64 s[18:19], vcc
	s_cbranch_execz .LBB48_241
; %bb.245:                              ;   in Loop: Header=BB48_242 Depth=1
	ds_write_b32 v3, v6 offset:148
	s_branch .LBB48_241
.LBB48_246:
	s_or_b64 exec, exec, s[20:21]
	s_brev_b32 s18, -2
	v_lshrrev_b32_e32 v2, 24, v1
	v_mov_b32_e32 v3, 0x80
	v_cmp_ne_u32_e32 vcc, s18, v1
	v_cndmask_b32_e32 v2, v3, v2, vcc
	v_and_b32_e32 v3, 7, v2
	v_lshrrev_b32_e32 v2, 2, v2
	v_mad_u32_u24 v3, v3, 37, v0
	v_and_b32_e32 v2, 2, v2
	v_lshl_or_b32 v20, v3, 2, v2
	ds_read_u16 v19, v20
	s_waitcnt lgkmcnt(0)
	v_add_u16_e32 v2, 1, v19
	ds_write_b16 v20, v2
	s_waitcnt lgkmcnt(0)
	; wave barrier
	s_waitcnt lgkmcnt(0)
	ds_read2_b64 v[6:9], v15 offset1:1
	ds_read2_b64 v[2:5], v15 offset0:2 offset1:3
	s_waitcnt lgkmcnt(1)
	v_add_u32_e32 v21, v7, v6
	v_add3_u32 v21, v21, v8, v9
	s_waitcnt lgkmcnt(0)
	v_add3_u32 v21, v21, v2, v3
	v_add3_u32 v5, v21, v4, v5
	s_nop 1
	v_mov_b32_dpp v21, v5 row_shr:1 row_mask:0xf bank_mask:0xf
	v_cndmask_b32_e64 v21, v21, 0, s[14:15]
	v_add_u32_e32 v5, v21, v5
	s_nop 1
	v_mov_b32_dpp v21, v5 row_shr:2 row_mask:0xf bank_mask:0xf
	v_cndmask_b32_e64 v21, 0, v21, s[12:13]
	v_add_u32_e32 v5, v5, v21
	s_nop 1
	v_mov_b32_dpp v21, v5 row_shr:4 row_mask:0xf bank_mask:0xf
	v_cndmask_b32_e64 v21, 0, v21, s[10:11]
	v_add_u32_e32 v5, v5, v21
	s_nop 1
	v_mov_b32_dpp v21, v5 row_shr:8 row_mask:0xf bank_mask:0xf
	v_cndmask_b32_e64 v21, 0, v21, s[8:9]
	v_add_u32_e32 v5, v5, v21
	s_nop 1
	v_mov_b32_dpp v21, v5 row_bcast:15 row_mask:0xf bank_mask:0xf
	v_cndmask_b32_e64 v21, v21, 0, s[6:7]
	v_add_u32_e32 v5, v5, v21
	s_nop 1
	v_mov_b32_dpp v21, v5 row_bcast:31 row_mask:0xf bank_mask:0xf
	v_cndmask_b32_e64 v21, 0, v21, s[4:5]
	v_add_u32_e32 v5, v5, v21
	s_and_saveexec_b64 s[18:19], s[2:3]
	s_cbranch_execz .LBB48_248
; %bb.247:
	v_mov_b32_e32 v21, 0
	ds_write_b32 v21, v5 offset:1184
.LBB48_248:
	s_or_b64 exec, exec, s[18:19]
	ds_bpermute_b32 v21, v16, v5
	v_mov_b32_e32 v5, 0
	s_waitcnt lgkmcnt(0)
	; wave barrier
	s_waitcnt lgkmcnt(0)
	ds_read_b32 v22, v5 offset:1184
	v_cndmask_b32_e64 v21, v21, 0, s[0:1]
	s_waitcnt lgkmcnt(0)
	v_lshl_add_u32 v22, v22, 16, v21
	v_add_u32_e32 v23, v22, v6
	v_add_u32_e32 v6, v23, v7
	;; [unrolled: 1-line block ×7, first 2 shown]
	ds_write2_b64 v15, v[22:23], v[6:7] offset1:1
	ds_write2_b64 v15, v[8:9], v[2:3] offset0:2 offset1:3
	s_waitcnt lgkmcnt(0)
	; wave barrier
	s_waitcnt lgkmcnt(0)
	ds_read_u16 v2, v20
	v_mov_b32_e32 v3, 2
	v_lshlrev_b32_sdwa v3, v3, v19 dst_sel:DWORD dst_unused:UNUSED_PAD src0_sel:DWORD src1_sel:WORD_0
	s_waitcnt lgkmcnt(0)
	; wave barrier
	s_waitcnt lgkmcnt(0)
	v_lshl_add_u32 v2, v2, 2, v3
	ds_write_b32 v2, v1
	s_waitcnt lgkmcnt(0)
	; wave barrier
	s_waitcnt lgkmcnt(0)
	ds_read_b32 v8, v14
	s_waitcnt lgkmcnt(0)
	; wave barrier
	s_waitcnt lgkmcnt(0)
	ds_write_b32 v2, v18
	s_waitcnt lgkmcnt(0)
	; wave barrier
	s_waitcnt lgkmcnt(0)
	ds_read_b32 v9, v14
	s_waitcnt lgkmcnt(0)
	; wave barrier
	s_waitcnt lgkmcnt(0)
	s_and_saveexec_b64 s[18:19], s[16:17]
	s_cbranch_execz .LBB48_276
; %bb.249:
	s_movk_i32 s16, 0x103
	v_bfrev_b32_e32 v2, -4.0
	v_cmp_gt_u32_e32 vcc, s16, v0
	v_subb_co_u32_e64 v2, s[16:17], v2, v0, vcc
	s_mov_b32 s16, 0xbacf914d
	v_sub_u32_e32 v1, 0x103, v0
	v_mul_hi_u32 v2, v2, s16
	v_subb_co_u32_e64 v1, s[16:17], v1, v2, vcc
	v_lshrrev_b32_e32 v1, 1, v1
	v_add_u32_e32 v1, v1, v2
	v_lshrrev_b32_e32 v1, 5, v1
	v_addc_co_u32_e32 v1, vcc, 0, v1, vcc
	v_lshrrev_b32_e32 v2, 1, v1
	s_mov_b32 s26, 0
	v_add_u32_e32 v2, 1, v2
	v_cmp_lt_u32_e32 vcc, 5, v1
	s_and_saveexec_b64 s[20:21], vcc
	s_cbranch_execz .LBB48_269
; %bb.250:
	v_mov_b32_e32 v4, 0x128
	v_and_b32_e32 v3, 0xffffffc, v2
	v_lshl_add_u32 v4, v0, 2, v4
	s_mov_b64 s[22:23], 0
	v_mov_b32_e32 v6, 0
	v_mov_b32_e32 v7, v14
	s_branch .LBB48_252
.LBB48_251:                             ;   in Loop: Header=BB48_252 Depth=1
	s_or_b64 exec, exec, s[16:17]
	v_add_u32_e32 v3, -4, v3
	s_add_i32 s16, s26, 8
	v_cmp_eq_u32_e32 vcc, 0, v3
	s_add_i32 s26, s27, 2
	v_add_u32_e32 v7, 0x4a0, v7
	v_add_u32_e32 v4, 0x4a0, v4
	s_or_b64 s[22:23], vcc, s[22:23]
	v_mov_b32_e32 v5, s16
	s_andn2_b64 exec, exec, s[22:23]
	s_cbranch_execz .LBB48_268
.LBB48_252:                             ; =>This Inner Loop Header: Depth=1
	s_or_b32 s16, s26, 1
	v_cmp_le_u32_e32 vcc, s16, v1
	v_cmp_le_u32_e64 s[16:17], s26, v1
	s_and_saveexec_b64 s[24:25], s[16:17]
	s_cbranch_execz .LBB48_254
; %bb.253:                              ;   in Loop: Header=BB48_252 Depth=1
	ds_write_b32 v7, v6
.LBB48_254:                             ;   in Loop: Header=BB48_252 Depth=1
	s_or_b64 exec, exec, s[24:25]
	s_and_saveexec_b64 s[16:17], vcc
	s_cbranch_execz .LBB48_256
; %bb.255:                              ;   in Loop: Header=BB48_252 Depth=1
	ds_write_b32 v7, v6 offset:148
.LBB48_256:                             ;   in Loop: Header=BB48_252 Depth=1
	s_or_b64 exec, exec, s[16:17]
	s_add_i32 s27, s26, 2
	s_add_i32 s16, s26, 3
	v_cmp_le_u32_e32 vcc, s16, v1
	v_cmp_le_u32_e64 s[16:17], s27, v1
	s_and_saveexec_b64 s[24:25], s[16:17]
	s_cbranch_execz .LBB48_258
; %bb.257:                              ;   in Loop: Header=BB48_252 Depth=1
	ds_write_b32 v4, v6
.LBB48_258:                             ;   in Loop: Header=BB48_252 Depth=1
	s_or_b64 exec, exec, s[24:25]
	s_and_saveexec_b64 s[16:17], vcc
	s_cbranch_execz .LBB48_260
; %bb.259:                              ;   in Loop: Header=BB48_252 Depth=1
	ds_write_b32 v4, v6 offset:148
.LBB48_260:                             ;   in Loop: Header=BB48_252 Depth=1
	s_or_b64 exec, exec, s[16:17]
	s_add_i32 s28, s27, 2
	s_add_i32 s27, s27, 3
	v_cmp_le_u32_e32 vcc, s27, v1
	v_cmp_le_u32_e64 s[16:17], s28, v1
	s_and_saveexec_b64 s[24:25], s[16:17]
	s_cbranch_execz .LBB48_262
; %bb.261:                              ;   in Loop: Header=BB48_252 Depth=1
	ds_write_b32 v4, v6 offset:296
.LBB48_262:                             ;   in Loop: Header=BB48_252 Depth=1
	s_or_b64 exec, exec, s[24:25]
	s_and_saveexec_b64 s[16:17], vcc
	s_cbranch_execz .LBB48_264
; %bb.263:                              ;   in Loop: Header=BB48_252 Depth=1
	ds_write_b32 v4, v6 offset:444
.LBB48_264:                             ;   in Loop: Header=BB48_252 Depth=1
	s_or_b64 exec, exec, s[16:17]
	s_add_i32 s27, s28, 2
	s_add_i32 s28, s28, 3
	v_cmp_le_u32_e32 vcc, s28, v1
	v_cmp_le_u32_e64 s[16:17], s27, v1
	s_and_saveexec_b64 s[24:25], s[16:17]
	s_cbranch_execz .LBB48_266
; %bb.265:                              ;   in Loop: Header=BB48_252 Depth=1
	ds_write_b32 v4, v6 offset:592
.LBB48_266:                             ;   in Loop: Header=BB48_252 Depth=1
	s_or_b64 exec, exec, s[24:25]
	s_and_saveexec_b64 s[16:17], vcc
	s_cbranch_execz .LBB48_251
; %bb.267:                              ;   in Loop: Header=BB48_252 Depth=1
	ds_write_b32 v4, v6 offset:740
	s_branch .LBB48_251
.LBB48_268:
	s_or_b64 exec, exec, s[22:23]
.LBB48_269:
	s_or_b64 exec, exec, s[20:21]
	v_and_b32_e32 v3, 3, v2
	v_cmp_ne_u32_e32 vcc, 0, v3
	s_and_b64 exec, exec, vcc
	s_cbranch_execz .LBB48_276
; %bb.270:
	s_movk_i32 s16, 0x94
	v_mul_lo_u32 v2, v5, s16
	v_add3_u32 v2, v17, v2, v15
	v_mul_u32_u24_e32 v3, 0x94, v3
	s_mov_b64 s[20:21], 0
	v_mov_b32_e32 v4, 0
	s_branch .LBB48_272
.LBB48_271:                             ;   in Loop: Header=BB48_272 Depth=1
	s_or_b64 exec, exec, s[16:17]
	v_add_u32_e32 v3, 0xffffff6c, v3
	v_cmp_eq_u32_e32 vcc, 0, v3
	v_add_u32_e32 v5, 2, v5
	s_or_b64 s[20:21], vcc, s[20:21]
	v_add_u32_e32 v2, 0x128, v2
	s_andn2_b64 exec, exec, s[20:21]
	s_cbranch_execz .LBB48_276
.LBB48_272:                             ; =>This Inner Loop Header: Depth=1
	v_or_b32_e32 v6, 1, v5
	v_cmp_le_u32_e32 vcc, v6, v1
	v_cmp_le_u32_e64 s[16:17], v5, v1
	s_and_saveexec_b64 s[22:23], s[16:17]
	s_cbranch_execz .LBB48_274
; %bb.273:                              ;   in Loop: Header=BB48_272 Depth=1
	ds_write_b32 v2, v4
.LBB48_274:                             ;   in Loop: Header=BB48_272 Depth=1
	s_or_b64 exec, exec, s[22:23]
	s_and_saveexec_b64 s[16:17], vcc
	s_cbranch_execz .LBB48_271
; %bb.275:                              ;   in Loop: Header=BB48_272 Depth=1
	ds_write_b32 v2, v4 offset:148
	s_branch .LBB48_271
.LBB48_276:
	s_or_b64 exec, exec, s[18:19]
	s_brev_b32 s16, -2
	v_lshrrev_b32_e32 v1, 28, v8
	v_cmp_ne_u32_e32 vcc, s16, v8
	v_cndmask_b32_e32 v1, 8, v1, vcc
	v_and_b32_e32 v2, 7, v1
	v_lshrrev_b32_e32 v1, 2, v1
	v_mad_u32_u24 v0, v2, 37, v0
	v_and_b32_e32 v1, 2, v1
	v_lshl_or_b32 v18, v0, 2, v1
	ds_read_u16 v17, v18
	s_waitcnt lgkmcnt(0)
	v_add_u16_e32 v0, 1, v17
	ds_write_b16 v18, v0
	s_waitcnt lgkmcnt(0)
	; wave barrier
	s_waitcnt lgkmcnt(0)
	ds_read2_b64 v[4:7], v15 offset1:1
	ds_read2_b64 v[0:3], v15 offset0:2 offset1:3
	s_waitcnt lgkmcnt(1)
	v_add_u32_e32 v19, v5, v4
	v_add3_u32 v19, v19, v6, v7
	s_waitcnt lgkmcnt(0)
	v_add3_u32 v19, v19, v0, v1
	v_add3_u32 v3, v19, v2, v3
	s_nop 1
	v_mov_b32_dpp v19, v3 row_shr:1 row_mask:0xf bank_mask:0xf
	v_cndmask_b32_e64 v19, v19, 0, s[14:15]
	v_add_u32_e32 v3, v19, v3
	s_nop 1
	v_mov_b32_dpp v19, v3 row_shr:2 row_mask:0xf bank_mask:0xf
	v_cndmask_b32_e64 v19, 0, v19, s[12:13]
	v_add_u32_e32 v3, v3, v19
	;; [unrolled: 4-line block ×4, first 2 shown]
	s_nop 1
	v_mov_b32_dpp v19, v3 row_bcast:15 row_mask:0xf bank_mask:0xf
	v_cndmask_b32_e64 v19, v19, 0, s[6:7]
	v_add_u32_e32 v3, v3, v19
	s_nop 1
	v_mov_b32_dpp v19, v3 row_bcast:31 row_mask:0xf bank_mask:0xf
	v_cndmask_b32_e64 v19, 0, v19, s[4:5]
	v_add_u32_e32 v3, v3, v19
	s_and_saveexec_b64 s[4:5], s[2:3]
	s_cbranch_execz .LBB48_278
; %bb.277:
	v_mov_b32_e32 v19, 0
	ds_write_b32 v19, v3 offset:1184
.LBB48_278:
	s_or_b64 exec, exec, s[4:5]
	ds_bpermute_b32 v3, v16, v3
	v_mov_b32_e32 v16, 0
	s_waitcnt lgkmcnt(0)
	; wave barrier
	s_waitcnt lgkmcnt(0)
	ds_read_b32 v16, v16 offset:1184
	v_cndmask_b32_e64 v3, v3, 0, s[0:1]
	s_waitcnt lgkmcnt(0)
	v_lshl_add_u32 v20, v16, 16, v3
	v_add_u32_e32 v21, v20, v4
	v_add_u32_e32 v4, v21, v5
	;; [unrolled: 1-line block ×7, first 2 shown]
	ds_write2_b64 v15, v[20:21], v[4:5] offset1:1
	ds_write2_b64 v15, v[6:7], v[0:1] offset0:2 offset1:3
	s_waitcnt lgkmcnt(0)
	; wave barrier
	s_waitcnt lgkmcnt(0)
	ds_read_u16 v0, v18
	v_mov_b32_e32 v1, 2
	v_lshlrev_b32_sdwa v1, v1, v17 dst_sel:DWORD dst_unused:UNUSED_PAD src0_sel:DWORD src1_sel:WORD_0
	s_waitcnt lgkmcnt(0)
	; wave barrier
	s_waitcnt lgkmcnt(0)
	v_lshl_add_u32 v0, v0, 2, v1
	ds_write_b32 v0, v8
	s_waitcnt lgkmcnt(0)
	; wave barrier
	s_waitcnt lgkmcnt(0)
	ds_read_b32 v1, v14
	s_waitcnt lgkmcnt(0)
	; wave barrier
	s_waitcnt lgkmcnt(0)
	ds_write_b32 v0, v9
	s_waitcnt lgkmcnt(0)
	; wave barrier
.LBB48_279:
	s_waitcnt lgkmcnt(0)
	ds_read_b32 v0, v14
	v_bfrev_b32_e32 v2, 1
	v_cmp_lt_i32_e32 vcc, -1, v1
	v_cndmask_b32_e64 v2, v2, -1, vcc
	v_xor_b32_e32 v1, v2, v1
	global_store_dword v[10:11], v1, off
	s_waitcnt lgkmcnt(0)
	global_store_dword v[12:13], v0, off
	s_endpgm
	.section	.rodata,"a",@progbits
	.p2align	6, 0x0
	.amdhsa_kernel _Z21sort_key_value_kernelILj37ELj1ELb0ELb0EfiEvPT3_PT4_jj
		.amdhsa_group_segment_fixed_size 1200
		.amdhsa_private_segment_fixed_size 0
		.amdhsa_kernarg_size 24
		.amdhsa_user_sgpr_count 6
		.amdhsa_user_sgpr_private_segment_buffer 1
		.amdhsa_user_sgpr_dispatch_ptr 0
		.amdhsa_user_sgpr_queue_ptr 0
		.amdhsa_user_sgpr_kernarg_segment_ptr 1
		.amdhsa_user_sgpr_dispatch_id 0
		.amdhsa_user_sgpr_flat_scratch_init 0
		.amdhsa_user_sgpr_kernarg_preload_length 0
		.amdhsa_user_sgpr_kernarg_preload_offset 0
		.amdhsa_user_sgpr_private_segment_size 0
		.amdhsa_uses_dynamic_stack 0
		.amdhsa_system_sgpr_private_segment_wavefront_offset 0
		.amdhsa_system_sgpr_workgroup_id_x 1
		.amdhsa_system_sgpr_workgroup_id_y 0
		.amdhsa_system_sgpr_workgroup_id_z 0
		.amdhsa_system_sgpr_workgroup_info 0
		.amdhsa_system_vgpr_workitem_id 0
		.amdhsa_next_free_vgpr 34
		.amdhsa_next_free_sgpr 42
		.amdhsa_accum_offset 36
		.amdhsa_reserve_vcc 1
		.amdhsa_reserve_flat_scratch 0
		.amdhsa_float_round_mode_32 0
		.amdhsa_float_round_mode_16_64 0
		.amdhsa_float_denorm_mode_32 3
		.amdhsa_float_denorm_mode_16_64 3
		.amdhsa_dx10_clamp 1
		.amdhsa_ieee_mode 1
		.amdhsa_fp16_overflow 0
		.amdhsa_tg_split 0
		.amdhsa_exception_fp_ieee_invalid_op 0
		.amdhsa_exception_fp_denorm_src 0
		.amdhsa_exception_fp_ieee_div_zero 0
		.amdhsa_exception_fp_ieee_overflow 0
		.amdhsa_exception_fp_ieee_underflow 0
		.amdhsa_exception_fp_ieee_inexact 0
		.amdhsa_exception_int_div_zero 0
	.end_amdhsa_kernel
	.section	.text._Z21sort_key_value_kernelILj37ELj1ELb0ELb0EfiEvPT3_PT4_jj,"axG",@progbits,_Z21sort_key_value_kernelILj37ELj1ELb0ELb0EfiEvPT3_PT4_jj,comdat
.Lfunc_end48:
	.size	_Z21sort_key_value_kernelILj37ELj1ELb0ELb0EfiEvPT3_PT4_jj, .Lfunc_end48-_Z21sort_key_value_kernelILj37ELj1ELb0ELb0EfiEvPT3_PT4_jj
                                        ; -- End function
	.section	.AMDGPU.csdata,"",@progbits
; Kernel info:
; codeLenInByte = 10300
; NumSgprs: 46
; NumVgprs: 34
; NumAgprs: 0
; TotalNumVgprs: 34
; ScratchSize: 0
; MemoryBound: 0
; FloatMode: 240
; IeeeMode: 1
; LDSByteSize: 1200 bytes/workgroup (compile time only)
; SGPRBlocks: 5
; VGPRBlocks: 4
; NumSGPRsForWavesPerEU: 46
; NumVGPRsForWavesPerEU: 34
; AccumOffset: 36
; Occupancy: 8
; WaveLimiterHint : 0
; COMPUTE_PGM_RSRC2:SCRATCH_EN: 0
; COMPUTE_PGM_RSRC2:USER_SGPR: 6
; COMPUTE_PGM_RSRC2:TRAP_HANDLER: 0
; COMPUTE_PGM_RSRC2:TGID_X_EN: 1
; COMPUTE_PGM_RSRC2:TGID_Y_EN: 0
; COMPUTE_PGM_RSRC2:TGID_Z_EN: 0
; COMPUTE_PGM_RSRC2:TIDIG_COMP_CNT: 0
; COMPUTE_PGM_RSRC3_GFX90A:ACCUM_OFFSET: 8
; COMPUTE_PGM_RSRC3_GFX90A:TG_SPLIT: 0
	.section	.text._Z21sort_key_value_kernelILj65ELj1ELb0ELb0EdjEvPT3_PT4_jj,"axG",@progbits,_Z21sort_key_value_kernelILj65ELj1ELb0ELb0EdjEvPT3_PT4_jj,comdat
	.protected	_Z21sort_key_value_kernelILj65ELj1ELb0ELb0EdjEvPT3_PT4_jj ; -- Begin function _Z21sort_key_value_kernelILj65ELj1ELb0ELb0EdjEvPT3_PT4_jj
	.globl	_Z21sort_key_value_kernelILj65ELj1ELb0ELb0EdjEvPT3_PT4_jj
	.p2align	8
	.type	_Z21sort_key_value_kernelILj65ELj1ELb0ELb0EdjEvPT3_PT4_jj,@function
_Z21sort_key_value_kernelILj65ELj1ELb0ELb0EdjEvPT3_PT4_jj: ; @_Z21sort_key_value_kernelILj65ELj1ELb0ELb0EdjEvPT3_PT4_jj
; %bb.0:
	s_load_dwordx4 s[0:3], s[4:5], 0x0
	s_load_dwordx2 s[36:37], s[4:5], 0x10
	s_mul_i32 s4, s6, 0x41
	s_mov_b32 s5, 0
	s_lshl_b64 s[6:7], s[4:5], 3
	s_waitcnt lgkmcnt(0)
	s_add_u32 s30, s0, s6
	s_addc_u32 s31, s1, s7
	v_lshlrev_b32_e32 v18, 3, v0
	global_load_dwordx2 v[2:3], v18, s[30:31]
	s_lshl_b64 s[0:1], s[4:5], 2
	s_add_u32 s34, s2, s0
	s_addc_u32 s35, s3, s1
	v_lshlrev_b32_e32 v20, 2, v0
	global_load_dword v26, v20, s[34:35]
	s_movk_i32 s6, 0x1c7
	v_cmp_gt_u32_e32 vcc, 64, v0
	v_mbcnt_lo_u32_b32 v1, -1, 0
	v_mov_b32_e32 v4, 0x1c7
	v_cndmask_b32_e64 v5, 64, 63, vcc
	v_cmp_gt_u32_e32 vcc, s6, v0
	s_cmp_eq_u32 s36, 0
	s_mov_b32 s13, 0x3f03f04
	v_mbcnt_hi_u32_b32 v1, -1, v1
	v_subb_co_u32_e64 v4, s[6:7], v4, v0, vcc
	s_cselect_b64 s[26:27], -1, 0
	s_cmp_eq_u32 s37, 64
	v_cmp_eq_u32_e64 s[8:9], v5, v0
	v_add_u32_e32 v5, -1, v1
	v_and_b32_e32 v12, 64, v1
	v_mul_hi_u32 v4, v4, s13
	s_cselect_b64 s[40:41], -1, 0
	v_lshrrev_b32_e32 v6, 4, v0
	v_cmp_lt_i32_e64 s[22:23], v5, v12
	v_addc_co_u32_e32 v12, vcc, 0, v4, vcc
	s_and_b64 s[26:27], s[26:27], s[40:41]
	v_bfrev_b32_e32 v19, 1
	s_movk_i32 s12, 0xffe4
	v_lshlrev_b32_e32 v13, 5, v0
	v_and_b32_e32 v8, 15, v1
	v_and_b32_e32 v9, 16, v1
	v_cmp_lt_u32_e64 s[6:7], 31, v1
	v_cmp_eq_u32_e64 s[10:11], 0, v1
	v_and_b32_e32 v23, 4, v6
	v_and_b32_e32 v6, 1, v1
	v_cndmask_b32_e64 v1, v5, v1, s[22:23]
	s_and_b64 vcc, exec, s[26:27]
	s_movk_i32 s0, 0x208
	v_mul_i32_i24_e32 v7, 0xffffffe4, v0
	v_mad_i32_i24 v24, v0, s12, v13
	v_lshlrev_b32_e32 v25, 2, v1
	s_mov_b64 s[28:29], -1
	s_mov_b32 s38, -1
	v_cmp_gt_u32_e64 s[0:1], s0, v0
	v_cmp_lt_u32_e64 s[2:3], 63, v0
	v_cmp_gt_u32_e64 s[4:5], 2, v0
	v_sub_u32_e32 v11, 0, v20
	v_lshl_add_u32 v10, v0, 5, v7
	v_cmp_eq_u32_e64 s[12:13], 0, v8
	v_cmp_lt_u32_e64 s[14:15], 1, v8
	v_cmp_lt_u32_e64 s[16:17], 3, v8
	;; [unrolled: 1-line block ×3, first 2 shown]
	v_cmp_eq_u32_e64 s[20:21], 0, v9
	v_cmp_eq_u32_e64 s[22:23], 0, v6
	v_add_u32_e32 v22, v24, v20
	v_lshrrev_b32_e32 v21, 1, v12
	v_cmp_lt_u32_e64 s[24:25], 5, v12
	v_mov_b32_e32 v28, s31
	v_mov_b32_e32 v27, s35
	s_waitcnt vmcnt(1)
	v_cmp_lt_i64_e64 s[26:27], -1, v[2:3]
	v_cndmask_b32_e64 v1, -1, v19, s[26:27]
	v_ashrrev_i32_e32 v4, 31, v3
	v_xor_b32_e32 v15, v1, v3
	v_xor_b32_e32 v14, v4, v2
	s_cbranch_vccnz .LBB49_40
; %bb.1:
	v_add_u32_e32 v2, 1, v21
	v_and_b32_e32 v3, 3, v2
	v_mov_b32_e32 v1, v12
	v_and_b32_e32 v29, 12, v2
	v_cmp_ne_u32_e64 s[26:27], 0, v3
	v_add_u32_e32 v31, 0x208, v20
	s_movk_i32 s31, 0x104
	v_mul_u32_u24_e32 v32, 0x104, v3
	v_mov_b32_e32 v33, 0
	s_brev_b32 s39, -2
	s_waitcnt vmcnt(0)
	v_mov_b32_e32 v6, v26
	v_pk_mov_b32 v[2:3], v[14:15], v[14:15] op_sel:[0,1]
	s_branch .LBB49_3
.LBB49_2:                               ;   in Loop: Header=BB49_3 Depth=1
	v_add_u32_e32 v6, v4, v5
	s_barrier
	ds_write_b64 v4, v[16:17]
	s_waitcnt lgkmcnt(0)
	s_barrier
	ds_read_b64 v[2:3], v22
	s_waitcnt lgkmcnt(0)
	s_barrier
	ds_write_b32 v6, v30
	v_add_u32_e32 v6, v22, v11
	s_waitcnt lgkmcnt(0)
	s_barrier
	ds_read_b32 v6, v6
	s_waitcnt lgkmcnt(0)
	s_barrier
	s_cbranch_execz .LBB49_39
.LBB49_3:                               ; =>This Loop Header: Depth=1
                                        ;     Child Loop BB49_7 Depth 2
                                        ;     Child Loop BB49_27 Depth 2
	v_pk_mov_b32 v[16:17], v[2:3], v[2:3] op_sel:[0,1]
	v_mov_b32_e32 v30, v6
	s_and_saveexec_b64 s[40:41], s[0:1]
	s_cbranch_execz .LBB49_31
; %bb.4:                                ;   in Loop: Header=BB49_3 Depth=1
	v_mov_b32_e32 v5, 0
	s_and_saveexec_b64 s[42:43], s[24:25]
	s_cbranch_execz .LBB49_24
; %bb.5:                                ;   in Loop: Header=BB49_3 Depth=1
	s_mov_b32 s33, 0
	s_mov_b64 s[44:45], 0
	v_mov_b32_e32 v2, v29
	v_mov_b32_e32 v3, v31
	;; [unrolled: 1-line block ×3, first 2 shown]
	s_branch .LBB49_7
.LBB49_6:                               ;   in Loop: Header=BB49_7 Depth=2
	s_or_b64 exec, exec, s[28:29]
	v_add_u32_e32 v2, -4, v2
	s_add_i32 s28, s33, 8
	v_cmp_eq_u32_e32 vcc, 0, v2
	s_add_i32 s33, s35, 2
	v_add_u32_e32 v4, 0x820, v4
	v_add_u32_e32 v3, 0x820, v3
	s_or_b64 s[44:45], vcc, s[44:45]
	v_mov_b32_e32 v5, s28
	s_andn2_b64 exec, exec, s[44:45]
	s_cbranch_execz .LBB49_23
.LBB49_7:                               ;   Parent Loop BB49_3 Depth=1
                                        ; =>  This Inner Loop Header: Depth=2
	s_or_b32 s28, s33, 1
	v_cmp_le_u32_e32 vcc, s28, v1
	v_cmp_le_u32_e64 s[28:29], s33, v12
	s_and_saveexec_b64 s[46:47], s[28:29]
	s_cbranch_execz .LBB49_9
; %bb.8:                                ;   in Loop: Header=BB49_7 Depth=2
	ds_write_b32 v4, v33
.LBB49_9:                               ;   in Loop: Header=BB49_7 Depth=2
	s_or_b64 exec, exec, s[46:47]
	s_and_saveexec_b64 s[28:29], vcc
	s_cbranch_execz .LBB49_11
; %bb.10:                               ;   in Loop: Header=BB49_7 Depth=2
	ds_write_b32 v4, v33 offset:260
.LBB49_11:                              ;   in Loop: Header=BB49_7 Depth=2
	s_or_b64 exec, exec, s[28:29]
	s_add_i32 s35, s33, 2
	s_add_i32 s28, s33, 3
	v_cmp_le_u32_e32 vcc, s28, v1
	v_cmp_le_u32_e64 s[28:29], s35, v12
	s_and_saveexec_b64 s[46:47], s[28:29]
	s_cbranch_execz .LBB49_13
; %bb.12:                               ;   in Loop: Header=BB49_7 Depth=2
	ds_write_b32 v3, v33
.LBB49_13:                              ;   in Loop: Header=BB49_7 Depth=2
	s_or_b64 exec, exec, s[46:47]
	s_and_saveexec_b64 s[28:29], vcc
	s_cbranch_execz .LBB49_15
; %bb.14:                               ;   in Loop: Header=BB49_7 Depth=2
	ds_write_b32 v3, v33 offset:260
.LBB49_15:                              ;   in Loop: Header=BB49_7 Depth=2
	s_or_b64 exec, exec, s[28:29]
	s_add_i32 s48, s35, 2
	s_add_i32 s35, s35, 3
	v_cmp_le_u32_e32 vcc, s35, v1
	v_cmp_le_u32_e64 s[28:29], s48, v12
	s_and_saveexec_b64 s[46:47], s[28:29]
	s_cbranch_execz .LBB49_17
; %bb.16:                               ;   in Loop: Header=BB49_7 Depth=2
	ds_write_b32 v3, v33 offset:520
.LBB49_17:                              ;   in Loop: Header=BB49_7 Depth=2
	s_or_b64 exec, exec, s[46:47]
	s_and_saveexec_b64 s[28:29], vcc
	s_cbranch_execz .LBB49_19
; %bb.18:                               ;   in Loop: Header=BB49_7 Depth=2
	ds_write_b32 v3, v33 offset:780
.LBB49_19:                              ;   in Loop: Header=BB49_7 Depth=2
	s_or_b64 exec, exec, s[28:29]
	s_add_i32 s35, s48, 2
	s_add_i32 s48, s48, 3
	v_cmp_le_u32_e32 vcc, s48, v1
	v_cmp_le_u32_e64 s[28:29], s35, v12
	s_and_saveexec_b64 s[46:47], s[28:29]
	s_cbranch_execz .LBB49_21
; %bb.20:                               ;   in Loop: Header=BB49_7 Depth=2
	ds_write_b32 v3, v33 offset:1040
.LBB49_21:                              ;   in Loop: Header=BB49_7 Depth=2
	s_or_b64 exec, exec, s[46:47]
	s_and_saveexec_b64 s[28:29], vcc
	s_cbranch_execz .LBB49_6
; %bb.22:                               ;   in Loop: Header=BB49_7 Depth=2
	ds_write_b32 v3, v33 offset:1300
	s_branch .LBB49_6
.LBB49_23:                              ;   in Loop: Header=BB49_3 Depth=1
	s_or_b64 exec, exec, s[44:45]
.LBB49_24:                              ;   in Loop: Header=BB49_3 Depth=1
	s_or_b64 exec, exec, s[42:43]
	s_and_b64 exec, exec, s[26:27]
	s_cbranch_execz .LBB49_31
; %bb.25:                               ;   in Loop: Header=BB49_3 Depth=1
	v_mad_u64_u32 v[2:3], s[28:29], v5, s31, v[10:11]
	s_mov_b64 s[42:43], 0
	v_mov_b32_e32 v3, v32
	s_branch .LBB49_27
.LBB49_26:                              ;   in Loop: Header=BB49_27 Depth=2
	s_or_b64 exec, exec, s[28:29]
	v_add_u32_e32 v3, 0xfffffefc, v3
	v_cmp_eq_u32_e32 vcc, 0, v3
	v_add_u32_e32 v5, 2, v5
	s_or_b64 s[42:43], vcc, s[42:43]
	v_add_u32_e32 v2, 0x208, v2
	s_andn2_b64 exec, exec, s[42:43]
	s_cbranch_execz .LBB49_31
.LBB49_27:                              ;   Parent Loop BB49_3 Depth=1
                                        ; =>  This Inner Loop Header: Depth=2
	v_or_b32_e32 v4, 1, v5
	v_cmp_le_u32_e32 vcc, v4, v1
	v_cmp_le_u32_e64 s[28:29], v5, v12
	s_and_saveexec_b64 s[44:45], s[28:29]
	s_cbranch_execz .LBB49_29
; %bb.28:                               ;   in Loop: Header=BB49_27 Depth=2
	ds_write_b32 v2, v33
.LBB49_29:                              ;   in Loop: Header=BB49_27 Depth=2
	s_or_b64 exec, exec, s[44:45]
	s_and_saveexec_b64 s[28:29], vcc
	s_cbranch_execz .LBB49_26
; %bb.30:                               ;   in Loop: Header=BB49_27 Depth=2
	ds_write_b32 v2, v33 offset:260
	s_branch .LBB49_26
.LBB49_31:                              ;   in Loop: Header=BB49_3 Depth=1
	s_or_b64 exec, exec, s[40:41]
	v_cmp_ne_u64_e32 vcc, s[38:39], v[16:17]
	s_sub_i32 s28, s37, s36
	v_cndmask_b32_e32 v3, v19, v17, vcc
	v_cndmask_b32_e32 v2, 0, v16, vcc
	s_min_u32 s28, s28, 4
	v_lshrrev_b64 v[2:3], s36, v[2:3]
	v_bfe_u32 v2, v2, 0, s28
	v_and_b32_e32 v3, 7, v2
	v_mul_u32_u24_e32 v3, 0x41, v3
	v_lshrrev_b32_e32 v2, 3, v2
	v_add_lshl_u32 v3, v3, v0, 1
	v_add_lshl_u32 v35, v3, v2, 1
	ds_read_u16 v34, v35
	s_waitcnt lgkmcnt(0)
	v_add_u16_e32 v2, 1, v34
	ds_write_b16 v35, v2
	s_waitcnt lgkmcnt(0)
	s_barrier
	ds_read2_b64 v[6:9], v13 offset1:1
	ds_read2_b64 v[2:5], v13 offset0:2 offset1:3
	s_waitcnt lgkmcnt(1)
	v_add_u32_e32 v36, v7, v6
	v_add3_u32 v36, v36, v8, v9
	s_waitcnt lgkmcnt(0)
	v_add3_u32 v36, v36, v2, v3
	v_add3_u32 v5, v36, v4, v5
	s_nop 1
	v_mov_b32_dpp v36, v5 row_shr:1 row_mask:0xf bank_mask:0xf
	v_cndmask_b32_e64 v36, v36, 0, s[12:13]
	v_add_u32_e32 v5, v36, v5
	s_nop 1
	v_mov_b32_dpp v36, v5 row_shr:2 row_mask:0xf bank_mask:0xf
	v_cndmask_b32_e64 v36, 0, v36, s[14:15]
	v_add_u32_e32 v5, v5, v36
	;; [unrolled: 4-line block ×4, first 2 shown]
	s_nop 1
	v_mov_b32_dpp v36, v5 row_bcast:15 row_mask:0xf bank_mask:0xf
	v_cndmask_b32_e64 v36, v36, 0, s[20:21]
	v_add_u32_e32 v5, v5, v36
	s_nop 1
	v_mov_b32_dpp v36, v5 row_bcast:31 row_mask:0xf bank_mask:0xf
	v_cndmask_b32_e64 v36, 0, v36, s[6:7]
	v_add_u32_e32 v5, v5, v36
	s_and_saveexec_b64 s[28:29], s[8:9]
	s_cbranch_execz .LBB49_33
; %bb.32:                               ;   in Loop: Header=BB49_3 Depth=1
	ds_write_b32 v23, v5 offset:2080
.LBB49_33:                              ;   in Loop: Header=BB49_3 Depth=1
	s_or_b64 exec, exec, s[28:29]
	s_waitcnt lgkmcnt(0)
	s_barrier
	s_and_saveexec_b64 s[28:29], s[4:5]
	s_cbranch_execz .LBB49_35
; %bb.34:                               ;   in Loop: Header=BB49_3 Depth=1
	ds_read_b32 v36, v24 offset:2080
	s_waitcnt lgkmcnt(0)
	s_nop 0
	v_mov_b32_dpp v37, v36 row_shr:1 row_mask:0xf bank_mask:0xf
	v_cndmask_b32_e64 v37, v37, 0, s[22:23]
	v_add_u32_e32 v36, v37, v36
	ds_write_b32 v24, v36 offset:2080
.LBB49_35:                              ;   in Loop: Header=BB49_3 Depth=1
	s_or_b64 exec, exec, s[28:29]
	v_mov_b32_e32 v36, 0
	s_waitcnt lgkmcnt(0)
	s_barrier
	s_and_saveexec_b64 s[28:29], s[2:3]
	s_cbranch_execz .LBB49_37
; %bb.36:                               ;   in Loop: Header=BB49_3 Depth=1
	ds_read_b32 v36, v23 offset:2076
.LBB49_37:                              ;   in Loop: Header=BB49_3 Depth=1
	s_or_b64 exec, exec, s[28:29]
	s_waitcnt lgkmcnt(0)
	v_add_u32_e32 v5, v36, v5
	ds_bpermute_b32 v5, v25, v5
	ds_read_b32 v37, v33 offset:2084
	s_add_i32 s36, s36, 4
	s_cmp_ge_u32 s36, s37
	s_waitcnt lgkmcnt(1)
	v_cndmask_b32_e64 v5, v5, v36, s[10:11]
	s_waitcnt lgkmcnt(0)
	v_lshl_add_u32 v36, v37, 16, v5
	v_add_u32_e32 v37, v36, v6
	v_add_u32_e32 v6, v37, v7
	v_add_u32_e32 v7, v6, v8
	v_add_u32_e32 v8, v7, v9
	v_add_u32_e32 v9, v8, v2
	v_add_u32_e32 v2, v9, v3
	v_add_u32_e32 v3, v2, v4
	ds_write2_b64 v13, v[36:37], v[6:7] offset1:1
	ds_write2_b64 v13, v[8:9], v[2:3] offset0:2 offset1:3
	s_waitcnt lgkmcnt(0)
	s_barrier
	ds_read_u16 v2, v35
	s_waitcnt lgkmcnt(0)
	v_add_u32_sdwa v2, v2, v34 dst_sel:DWORD dst_unused:UNUSED_PAD src0_sel:DWORD src1_sel:WORD_0
	v_lshlrev_b32_e32 v4, 3, v2
	v_lshlrev_b32_e32 v2, 2, v2
	v_sub_u32_e32 v5, 0, v2
	s_cbranch_scc0 .LBB49_2
; %bb.38:
                                        ; implicit-def: $vgpr2_vgpr3
                                        ; implicit-def: $vgpr6
.LBB49_39:
	s_barrier
	ds_write_b64 v4, v[16:17]
	s_waitcnt lgkmcnt(0)
	s_barrier
	ds_read_b64 v[2:3], v22
	v_add_u32_e32 v1, v4, v5
	s_waitcnt lgkmcnt(0)
	s_barrier
	ds_write_b32 v1, v30
	s_waitcnt lgkmcnt(0)
	s_barrier
	s_mov_b64 s[28:29], 0
	s_branch .LBB49_41
.LBB49_40:
                                        ; implicit-def: $vgpr2_vgpr3
.LBB49_41:
	v_add_co_u32_e32 v16, vcc, s30, v18
	v_addc_co_u32_e32 v17, vcc, 0, v28, vcc
	v_add_co_u32_e32 v18, vcc, s34, v20
	v_addc_co_u32_e32 v19, vcc, 0, v27, vcc
	s_and_b64 vcc, exec, s[28:29]
	s_cbranch_vccz .LBB49_81
; %bb.42:
	v_add_u32_e32 v2, 1, v21
	v_and_b32_e32 v3, 3, v2
	s_mov_b32 s30, -1
	v_mov_b32_e32 v1, v12
	v_cmp_lt_u32_e64 s[24:25], 5, v12
	v_and_b32_e32 v27, 12, v2
	s_mov_b32 s33, 0
	v_cmp_ne_u32_e64 s[26:27], 0, v3
	v_add_u32_e32 v28, 0x410, v20
	s_movk_i32 s42, 0x104
	v_mul_u32_u24_e32 v29, 0x104, v3
	v_mov_b32_e32 v31, 0
	s_brev_b32 s31, -2
	v_bfrev_b32_e32 v32, 1
	s_movk_i32 s43, 0x41
	s_branch .LBB49_44
.LBB49_43:                              ;   in Loop: Header=BB49_44 Depth=1
	v_lshlrev_b32_e32 v2, 3, v4
	v_lshlrev_b32_e32 v3, 2, v4
	s_barrier
	ds_write_b64 v2, v[20:21]
	v_sub_u32_e32 v2, v2, v3
	s_waitcnt lgkmcnt(0)
	s_barrier
	ds_read_b64 v[14:15], v22
	s_waitcnt lgkmcnt(0)
	s_barrier
	ds_write_b32 v2, v30
	v_add_u32_e32 v2, v22, v11
	s_waitcnt lgkmcnt(0)
	s_barrier
	ds_read_b32 v26, v2
	s_add_i32 s33, s33, 4
	s_waitcnt lgkmcnt(0)
	s_barrier
	s_cbranch_execz .LBB49_80
.LBB49_44:                              ; =>This Loop Header: Depth=1
                                        ;     Child Loop BB49_48 Depth 2
                                        ;     Child Loop BB49_68 Depth 2
	v_pk_mov_b32 v[20:21], v[14:15], v[14:15] op_sel:[0,1]
	s_waitcnt vmcnt(0)
	v_mov_b32_e32 v30, v26
	s_and_saveexec_b64 s[34:35], s[0:1]
	s_cbranch_execz .LBB49_72
; %bb.45:                               ;   in Loop: Header=BB49_44 Depth=1
	v_mov_b32_e32 v5, 0
	s_and_saveexec_b64 s[36:37], s[24:25]
	s_cbranch_execz .LBB49_65
; %bb.46:                               ;   in Loop: Header=BB49_44 Depth=1
	s_mov_b32 s44, 0
	s_mov_b64 s[38:39], 0
	v_mov_b32_e32 v2, v27
	v_mov_b32_e32 v3, v28
	v_mov_b32_e32 v4, v24
	s_branch .LBB49_48
.LBB49_47:                              ;   in Loop: Header=BB49_48 Depth=2
	s_or_b64 exec, exec, s[28:29]
	v_add_u32_e32 v2, -4, v2
	s_add_i32 s28, s44, 8
	v_cmp_eq_u32_e32 vcc, 0, v2
	s_add_i32 s44, s45, 2
	v_add_u32_e32 v4, 0x820, v4
	v_add_u32_e32 v3, 0x820, v3
	s_or_b64 s[38:39], vcc, s[38:39]
	v_mov_b32_e32 v5, s28
	s_andn2_b64 exec, exec, s[38:39]
	s_cbranch_execz .LBB49_64
.LBB49_48:                              ;   Parent Loop BB49_44 Depth=1
                                        ; =>  This Inner Loop Header: Depth=2
	s_or_b32 s28, s44, 1
	v_cmp_le_u32_e32 vcc, s28, v1
	v_cmp_le_u32_e64 s[28:29], s44, v12
	s_and_saveexec_b64 s[40:41], s[28:29]
	s_cbranch_execz .LBB49_50
; %bb.49:                               ;   in Loop: Header=BB49_48 Depth=2
	ds_write_b32 v4, v31
.LBB49_50:                              ;   in Loop: Header=BB49_48 Depth=2
	s_or_b64 exec, exec, s[40:41]
	s_and_saveexec_b64 s[28:29], vcc
	s_cbranch_execz .LBB49_52
; %bb.51:                               ;   in Loop: Header=BB49_48 Depth=2
	ds_write_b32 v4, v31 offset:260
.LBB49_52:                              ;   in Loop: Header=BB49_48 Depth=2
	s_or_b64 exec, exec, s[28:29]
	s_add_i32 s45, s44, 2
	s_add_i32 s28, s44, 3
	v_cmp_le_u32_e32 vcc, s28, v1
	v_cmp_le_u32_e64 s[28:29], s45, v12
	s_and_saveexec_b64 s[40:41], s[28:29]
	s_cbranch_execz .LBB49_54
; %bb.53:                               ;   in Loop: Header=BB49_48 Depth=2
	ds_write_b32 v4, v31 offset:520
.LBB49_54:                              ;   in Loop: Header=BB49_48 Depth=2
	s_or_b64 exec, exec, s[40:41]
	s_and_saveexec_b64 s[28:29], vcc
	s_cbranch_execz .LBB49_56
; %bb.55:                               ;   in Loop: Header=BB49_48 Depth=2
	ds_write_b32 v4, v31 offset:780
.LBB49_56:                              ;   in Loop: Header=BB49_48 Depth=2
	s_or_b64 exec, exec, s[28:29]
	s_add_i32 s46, s45, 2
	s_add_i32 s45, s45, 3
	v_cmp_le_u32_e32 vcc, s45, v1
	v_cmp_le_u32_e64 s[28:29], s46, v12
	s_and_saveexec_b64 s[40:41], s[28:29]
	s_cbranch_execz .LBB49_58
; %bb.57:                               ;   in Loop: Header=BB49_48 Depth=2
	ds_write_b32 v3, v31
.LBB49_58:                              ;   in Loop: Header=BB49_48 Depth=2
	s_or_b64 exec, exec, s[40:41]
	s_and_saveexec_b64 s[28:29], vcc
	s_cbranch_execz .LBB49_60
; %bb.59:                               ;   in Loop: Header=BB49_48 Depth=2
	ds_write_b32 v3, v31 offset:260
.LBB49_60:                              ;   in Loop: Header=BB49_48 Depth=2
	s_or_b64 exec, exec, s[28:29]
	s_add_i32 s45, s46, 2
	s_add_i32 s46, s46, 3
	v_cmp_le_u32_e32 vcc, s46, v1
	v_cmp_le_u32_e64 s[28:29], s45, v12
	s_and_saveexec_b64 s[40:41], s[28:29]
	s_cbranch_execz .LBB49_62
; %bb.61:                               ;   in Loop: Header=BB49_48 Depth=2
	ds_write_b32 v3, v31 offset:520
.LBB49_62:                              ;   in Loop: Header=BB49_48 Depth=2
	s_or_b64 exec, exec, s[40:41]
	s_and_saveexec_b64 s[28:29], vcc
	s_cbranch_execz .LBB49_47
; %bb.63:                               ;   in Loop: Header=BB49_48 Depth=2
	ds_write_b32 v3, v31 offset:780
	s_branch .LBB49_47
.LBB49_64:                              ;   in Loop: Header=BB49_44 Depth=1
	s_or_b64 exec, exec, s[38:39]
.LBB49_65:                              ;   in Loop: Header=BB49_44 Depth=1
	s_or_b64 exec, exec, s[36:37]
	s_and_b64 exec, exec, s[26:27]
	s_cbranch_execz .LBB49_72
; %bb.66:                               ;   in Loop: Header=BB49_44 Depth=1
	v_mad_u64_u32 v[2:3], s[28:29], v5, s42, v[10:11]
	s_mov_b64 s[36:37], 0
	v_mov_b32_e32 v3, v29
	s_branch .LBB49_68
.LBB49_67:                              ;   in Loop: Header=BB49_68 Depth=2
	s_or_b64 exec, exec, s[28:29]
	v_add_u32_e32 v3, 0xfffffefc, v3
	v_cmp_eq_u32_e32 vcc, 0, v3
	v_add_u32_e32 v5, 2, v5
	s_or_b64 s[36:37], vcc, s[36:37]
	v_add_u32_e32 v2, 0x208, v2
	s_andn2_b64 exec, exec, s[36:37]
	s_cbranch_execz .LBB49_72
.LBB49_68:                              ;   Parent Loop BB49_44 Depth=1
                                        ; =>  This Inner Loop Header: Depth=2
	v_or_b32_e32 v4, 1, v5
	v_cmp_le_u32_e32 vcc, v4, v1
	v_cmp_le_u32_e64 s[28:29], v5, v12
	s_and_saveexec_b64 s[38:39], s[28:29]
	s_cbranch_execz .LBB49_70
; %bb.69:                               ;   in Loop: Header=BB49_68 Depth=2
	ds_write_b32 v2, v31
.LBB49_70:                              ;   in Loop: Header=BB49_68 Depth=2
	s_or_b64 exec, exec, s[38:39]
	s_and_saveexec_b64 s[28:29], vcc
	s_cbranch_execz .LBB49_67
; %bb.71:                               ;   in Loop: Header=BB49_68 Depth=2
	ds_write_b32 v2, v31 offset:260
	s_branch .LBB49_67
.LBB49_72:                              ;   in Loop: Header=BB49_44 Depth=1
	s_or_b64 exec, exec, s[34:35]
	v_cmp_ne_u64_e32 vcc, s[30:31], v[20:21]
	v_cndmask_b32_e32 v3, v32, v21, vcc
	v_cndmask_b32_e32 v2, 0, v20, vcc
	v_lshrrev_b64 v[2:3], s33, v[2:3]
	v_and_b32_e32 v3, 7, v2
	v_lshrrev_b32_e32 v2, 2, v2
	v_mad_u32_u24 v3, v3, s43, v0
	v_and_b32_e32 v2, 2, v2
	v_lshl_or_b32 v15, v3, 2, v2
	ds_read_u16 v14, v15
	s_waitcnt lgkmcnt(0)
	v_add_u16_e32 v2, 1, v14
	ds_write_b16 v15, v2
	s_waitcnt lgkmcnt(0)
	s_barrier
	ds_read2_b64 v[6:9], v13 offset1:1
	ds_read2_b64 v[2:5], v13 offset0:2 offset1:3
	s_waitcnt lgkmcnt(1)
	v_add_u32_e32 v26, v7, v6
	v_add3_u32 v26, v26, v8, v9
	s_waitcnt lgkmcnt(0)
	v_add3_u32 v26, v26, v2, v3
	v_add3_u32 v5, v26, v4, v5
	s_nop 1
	v_mov_b32_dpp v26, v5 row_shr:1 row_mask:0xf bank_mask:0xf
	v_cndmask_b32_e64 v26, v26, 0, s[12:13]
	v_add_u32_e32 v5, v26, v5
	s_nop 1
	v_mov_b32_dpp v26, v5 row_shr:2 row_mask:0xf bank_mask:0xf
	v_cndmask_b32_e64 v26, 0, v26, s[14:15]
	v_add_u32_e32 v5, v5, v26
	;; [unrolled: 4-line block ×4, first 2 shown]
	s_nop 1
	v_mov_b32_dpp v26, v5 row_bcast:15 row_mask:0xf bank_mask:0xf
	v_cndmask_b32_e64 v26, v26, 0, s[20:21]
	v_add_u32_e32 v5, v5, v26
	s_nop 1
	v_mov_b32_dpp v26, v5 row_bcast:31 row_mask:0xf bank_mask:0xf
	v_cndmask_b32_e64 v26, 0, v26, s[6:7]
	v_add_u32_e32 v5, v5, v26
	s_and_saveexec_b64 s[28:29], s[8:9]
	s_cbranch_execz .LBB49_74
; %bb.73:                               ;   in Loop: Header=BB49_44 Depth=1
	ds_write_b32 v23, v5 offset:2080
.LBB49_74:                              ;   in Loop: Header=BB49_44 Depth=1
	s_or_b64 exec, exec, s[28:29]
	s_waitcnt lgkmcnt(0)
	s_barrier
	s_and_saveexec_b64 s[28:29], s[4:5]
	s_cbranch_execz .LBB49_76
; %bb.75:                               ;   in Loop: Header=BB49_44 Depth=1
	ds_read_b32 v26, v24 offset:2080
	s_waitcnt lgkmcnt(0)
	s_nop 0
	v_mov_b32_dpp v33, v26 row_shr:1 row_mask:0xf bank_mask:0xf
	v_cndmask_b32_e64 v33, v33, 0, s[22:23]
	v_add_u32_e32 v26, v33, v26
	ds_write_b32 v24, v26 offset:2080
.LBB49_76:                              ;   in Loop: Header=BB49_44 Depth=1
	s_or_b64 exec, exec, s[28:29]
	v_mov_b32_e32 v26, 0
	s_waitcnt lgkmcnt(0)
	s_barrier
	s_and_saveexec_b64 s[28:29], s[2:3]
	s_cbranch_execz .LBB49_78
; %bb.77:                               ;   in Loop: Header=BB49_44 Depth=1
	ds_read_b32 v26, v23 offset:2076
.LBB49_78:                              ;   in Loop: Header=BB49_44 Depth=1
	s_or_b64 exec, exec, s[28:29]
	s_waitcnt lgkmcnt(0)
	v_add_u32_e32 v5, v26, v5
	ds_bpermute_b32 v5, v25, v5
	ds_read_b32 v33, v31 offset:2084
	s_cmp_gt_u32 s33, 59
	s_waitcnt lgkmcnt(1)
	v_cndmask_b32_e64 v5, v5, v26, s[10:11]
	s_waitcnt lgkmcnt(0)
	v_lshl_add_u32 v34, v33, 16, v5
	v_add_u32_e32 v35, v34, v6
	v_add_u32_e32 v6, v35, v7
	;; [unrolled: 1-line block ×7, first 2 shown]
	ds_write2_b64 v13, v[34:35], v[6:7] offset1:1
	ds_write2_b64 v13, v[8:9], v[2:3] offset0:2 offset1:3
	s_waitcnt lgkmcnt(0)
	s_barrier
	ds_read_u16 v2, v15
	s_waitcnt lgkmcnt(0)
	v_add_u32_sdwa v4, v2, v14 dst_sel:DWORD dst_unused:UNUSED_PAD src0_sel:DWORD src1_sel:WORD_0
	s_cbranch_scc0 .LBB49_43
; %bb.79:
                                        ; implicit-def: $sgpr33
                                        ; implicit-def: $vgpr14_vgpr15
                                        ; implicit-def: $vgpr26
.LBB49_80:
	v_lshlrev_b32_e32 v0, 3, v4
	s_barrier
	ds_write_b64 v0, v[20:21]
	s_waitcnt lgkmcnt(0)
	s_barrier
	ds_read_b64 v[2:3], v22
	v_lshlrev_b32_e32 v1, 2, v4
	v_sub_u32_e32 v0, v0, v1
	s_waitcnt lgkmcnt(0)
	s_barrier
	ds_write_b32 v0, v30
	s_waitcnt lgkmcnt(0)
	s_barrier
.LBB49_81:
	v_add_u32_e32 v0, v22, v11
	ds_read_b32 v4, v0
	v_bfrev_b32_e32 v0, 1
	v_cmp_lt_i64_e32 vcc, -1, v[2:3]
	v_ashrrev_i32_e32 v1, 31, v3
	v_cndmask_b32_e64 v0, v0, -1, vcc
	v_not_b32_e32 v5, v1
	v_xor_b32_e32 v1, v0, v3
	v_xor_b32_e32 v0, v5, v2
	global_store_dwordx2 v[16:17], v[0:1], off
	s_waitcnt lgkmcnt(0)
	global_store_dword v[18:19], v4, off
	s_endpgm
	.section	.rodata,"a",@progbits
	.p2align	6, 0x0
	.amdhsa_kernel _Z21sort_key_value_kernelILj65ELj1ELb0ELb0EdjEvPT3_PT4_jj
		.amdhsa_group_segment_fixed_size 2096
		.amdhsa_private_segment_fixed_size 0
		.amdhsa_kernarg_size 24
		.amdhsa_user_sgpr_count 6
		.amdhsa_user_sgpr_private_segment_buffer 1
		.amdhsa_user_sgpr_dispatch_ptr 0
		.amdhsa_user_sgpr_queue_ptr 0
		.amdhsa_user_sgpr_kernarg_segment_ptr 1
		.amdhsa_user_sgpr_dispatch_id 0
		.amdhsa_user_sgpr_flat_scratch_init 0
		.amdhsa_user_sgpr_kernarg_preload_length 0
		.amdhsa_user_sgpr_kernarg_preload_offset 0
		.amdhsa_user_sgpr_private_segment_size 0
		.amdhsa_uses_dynamic_stack 0
		.amdhsa_system_sgpr_private_segment_wavefront_offset 0
		.amdhsa_system_sgpr_workgroup_id_x 1
		.amdhsa_system_sgpr_workgroup_id_y 0
		.amdhsa_system_sgpr_workgroup_id_z 0
		.amdhsa_system_sgpr_workgroup_info 0
		.amdhsa_system_vgpr_workitem_id 0
		.amdhsa_next_free_vgpr 38
		.amdhsa_next_free_sgpr 49
		.amdhsa_accum_offset 40
		.amdhsa_reserve_vcc 1
		.amdhsa_reserve_flat_scratch 0
		.amdhsa_float_round_mode_32 0
		.amdhsa_float_round_mode_16_64 0
		.amdhsa_float_denorm_mode_32 3
		.amdhsa_float_denorm_mode_16_64 3
		.amdhsa_dx10_clamp 1
		.amdhsa_ieee_mode 1
		.amdhsa_fp16_overflow 0
		.amdhsa_tg_split 0
		.amdhsa_exception_fp_ieee_invalid_op 0
		.amdhsa_exception_fp_denorm_src 0
		.amdhsa_exception_fp_ieee_div_zero 0
		.amdhsa_exception_fp_ieee_overflow 0
		.amdhsa_exception_fp_ieee_underflow 0
		.amdhsa_exception_fp_ieee_inexact 0
		.amdhsa_exception_int_div_zero 0
	.end_amdhsa_kernel
	.section	.text._Z21sort_key_value_kernelILj65ELj1ELb0ELb0EdjEvPT3_PT4_jj,"axG",@progbits,_Z21sort_key_value_kernelILj65ELj1ELb0ELb0EdjEvPT3_PT4_jj,comdat
.Lfunc_end49:
	.size	_Z21sort_key_value_kernelILj65ELj1ELb0ELb0EdjEvPT3_PT4_jj, .Lfunc_end49-_Z21sort_key_value_kernelILj65ELj1ELb0ELb0EdjEvPT3_PT4_jj
                                        ; -- End function
	.section	.AMDGPU.csdata,"",@progbits
; Kernel info:
; codeLenInByte = 3016
; NumSgprs: 53
; NumVgprs: 38
; NumAgprs: 0
; TotalNumVgprs: 38
; ScratchSize: 0
; MemoryBound: 0
; FloatMode: 240
; IeeeMode: 1
; LDSByteSize: 2096 bytes/workgroup (compile time only)
; SGPRBlocks: 6
; VGPRBlocks: 4
; NumSGPRsForWavesPerEU: 53
; NumVGPRsForWavesPerEU: 38
; AccumOffset: 40
; Occupancy: 8
; WaveLimiterHint : 0
; COMPUTE_PGM_RSRC2:SCRATCH_EN: 0
; COMPUTE_PGM_RSRC2:USER_SGPR: 6
; COMPUTE_PGM_RSRC2:TRAP_HANDLER: 0
; COMPUTE_PGM_RSRC2:TGID_X_EN: 1
; COMPUTE_PGM_RSRC2:TGID_Y_EN: 0
; COMPUTE_PGM_RSRC2:TGID_Z_EN: 0
; COMPUTE_PGM_RSRC2:TIDIG_COMP_CNT: 0
; COMPUTE_PGM_RSRC3_GFX90A:ACCUM_OFFSET: 9
; COMPUTE_PGM_RSRC3_GFX90A:TG_SPLIT: 0
	.section	.text._Z21sort_key_value_kernelILj1024ELj1ELb0ELb1EtcEvPT3_PT4_jj,"axG",@progbits,_Z21sort_key_value_kernelILj1024ELj1ELb0ELb1EtcEvPT3_PT4_jj,comdat
	.protected	_Z21sort_key_value_kernelILj1024ELj1ELb0ELb1EtcEvPT3_PT4_jj ; -- Begin function _Z21sort_key_value_kernelILj1024ELj1ELb0ELb1EtcEvPT3_PT4_jj
	.globl	_Z21sort_key_value_kernelILj1024ELj1ELb0ELb1EtcEvPT3_PT4_jj
	.p2align	8
	.type	_Z21sort_key_value_kernelILj1024ELj1ELb0ELb1EtcEvPT3_PT4_jj,@function
_Z21sort_key_value_kernelILj1024ELj1ELb0ELb1EtcEvPT3_PT4_jj: ; @_Z21sort_key_value_kernelILj1024ELj1ELb0ELb1EtcEvPT3_PT4_jj
; %bb.0:
	s_load_dwordx4 s[0:3], s[4:5], 0x0
	s_load_dwordx2 s[28:29], s[4:5], 0x10
	s_lshl_b32 s22, s6, 10
	s_mov_b32 s23, 0
	s_lshl_b64 s[6:7], s[22:23], 1
	s_waitcnt lgkmcnt(0)
	s_add_u32 s24, s0, s6
	v_and_b32_e32 v4, 0x3ff, v0
	s_addc_u32 s25, s1, s7
	v_lshlrev_b32_e32 v5, 1, v4
	s_add_u32 s26, s2, s22
	global_load_ushort v2, v5, s[24:25]
	s_addc_u32 s27, s3, 0
	global_load_ubyte v17, v4, s[26:27]
	s_load_dword s22, s[4:5], 0x24
	v_mbcnt_lo_u32_b32 v1, -1, 0
	s_cmp_eq_u32 s28, 0
	v_mbcnt_hi_u32_b32 v1, -1, v1
	s_cselect_b64 s[30:31], -1, 0
	s_cmp_eq_u32 s29, 16
	v_bfe_u32 v3, v0, 10, 10
	v_bfe_u32 v0, v0, 20, 10
	v_add_u32_e32 v9, -1, v1
	v_and_b32_e32 v10, 64, v1
	v_mov_b32_e32 v23, s25
	s_cselect_b64 s[34:35], -1, 0
	s_waitcnt lgkmcnt(0)
	s_lshr_b32 s25, s22, 16
	v_and_b32_e32 v6, 15, v1
	v_lshrrev_b32_e32 v11, 4, v4
	v_and_b32_e32 v14, 0x3c0, v4
	v_cmp_lt_i32_e32 vcc, v9, v10
	s_and_b32 s22, s22, 0xffff
	v_mad_u32_u24 v0, v0, s25, v3
	v_lshlrev_b32_e32 v12, 4, v4
	v_and_b32_e32 v7, 16, v1
	v_cmp_lt_u32_e64 s[16:17], 31, v1
	v_and_b32_e32 v8, 63, v4
	v_cmp_eq_u32_e64 s[0:1], 0, v1
	v_mul_i32_i24_e32 v13, -12, v4
	v_cmp_eq_u32_e64 s[14:15], 0, v6
	v_cmp_lt_u32_e64 s[12:13], 1, v6
	v_cmp_lt_u32_e64 s[10:11], 3, v6
	v_cmp_lt_u32_e64 s[8:9], 7, v6
	v_cndmask_b32_e32 v6, v9, v1, vcc
	v_and_b32_e32 v16, 60, v11
	v_add_u32_e32 v18, v1, v14
	s_and_b64 s[30:31], s[30:31], s[34:35]
	v_mad_u64_u32 v[0:1], s[34:35], v0, s22, v[4:5]
	v_cmp_gt_u32_e64 s[6:7], 16, v4
	v_cmp_lt_u32_e64 s[4:5], 63, v4
	v_cmp_eq_u32_e64 s[2:3], 0, v4
	v_cmp_eq_u32_e64 s[20:21], 0, v7
	v_cmp_eq_u32_e64 s[18:19], 63, v8
	v_add_u32_e32 v15, v12, v13
	v_lshlrev_b32_e32 v13, 2, v6
	v_add_u32_e32 v14, -4, v16
	v_lshlrev_b32_e32 v20, 1, v18
	v_mov_b32_e32 v22, s27
	s_and_b64 vcc, exec, s[30:31]
	v_lshrrev_b32_e32 v19, 6, v0
	s_waitcnt vmcnt(1)
	v_xor_b32_e32 v21, -1, v2
	s_cbranch_vccnz .LBB50_14
; %bb.1:
	s_mov_b32 s22, s23
	s_mov_b32 s30, s23
	;; [unrolled: 1-line block ×3, first 2 shown]
	s_sub_i32 s25, s29, s28
	v_pk_mov_b32 v[6:7], s[22:23], s[22:23] op_sel:[0,1]
	v_pk_mov_b32 v[8:9], s[30:31], s[30:31] op_sel:[0,1]
	v_mov_b32_e32 v10, 0
	s_waitcnt vmcnt(0)
	v_mov_b32_e32 v3, v17
	v_mov_b32_e32 v2, v21
	s_branch .LBB50_3
.LBB50_2:                               ;   in Loop: Header=BB50_3 Depth=1
	s_barrier
	ds_write_b16 v1, v25
	s_waitcnt lgkmcnt(0)
	s_barrier
	ds_read_u16 v2, v20
	s_waitcnt lgkmcnt(0)
	s_barrier
	ds_write_b8 v0, v24
	s_waitcnt lgkmcnt(0)
	s_barrier
	ds_read_u8 v3, v18
	s_add_i32 s25, s25, -8
	s_waitcnt lgkmcnt(0)
	s_barrier
	s_cbranch_execz .LBB50_13
.LBB50_3:                               ; =>This Inner Loop Header: Depth=1
	v_mov_b32_e32 v25, v2
	s_min_u32 s22, s25, 8
	v_lshrrev_b32_sdwa v0, s28, v25 dst_sel:DWORD dst_unused:UNUSED_PAD src0_sel:DWORD src1_sel:WORD_0
	v_bfe_u32 v0, v0, 0, s22
	v_lshl_add_u32 v1, v0, 4, v19
	v_lshl_add_u32 v26, v1, 2, 64
	v_and_b32_e32 v1, 1, v0
	v_add_co_u32_e32 v2, vcc, -1, v1
	v_mov_b32_e32 v24, v3
	v_addc_co_u32_e64 v3, s[22:23], 0, -1, vcc
	v_cmp_ne_u32_e32 vcc, 0, v1
	v_lshlrev_b32_e32 v11, 30, v0
	v_xor_b32_e32 v1, vcc_hi, v3
	v_not_b32_e32 v3, v11
	v_xor_b32_e32 v2, vcc_lo, v2
	v_cmp_gt_i64_e32 vcc, 0, v[10:11]
	v_ashrrev_i32_e32 v3, 31, v3
	v_and_b32_e32 v1, exec_hi, v1
	v_xor_b32_e32 v11, vcc_hi, v3
	v_and_b32_e32 v2, exec_lo, v2
	v_xor_b32_e32 v3, vcc_lo, v3
	v_and_b32_e32 v1, v1, v11
	v_lshlrev_b32_e32 v11, 29, v0
	v_and_b32_e32 v2, v2, v3
	v_not_b32_e32 v3, v11
	v_cmp_gt_i64_e32 vcc, 0, v[10:11]
	v_ashrrev_i32_e32 v3, 31, v3
	v_xor_b32_e32 v11, vcc_hi, v3
	v_xor_b32_e32 v3, vcc_lo, v3
	v_and_b32_e32 v1, v1, v11
	v_lshlrev_b32_e32 v11, 28, v0
	v_and_b32_e32 v2, v2, v3
	v_not_b32_e32 v3, v11
	v_cmp_gt_i64_e32 vcc, 0, v[10:11]
	v_ashrrev_i32_e32 v3, 31, v3
	v_xor_b32_e32 v11, vcc_hi, v3
	;; [unrolled: 8-line block ×5, first 2 shown]
	v_and_b32_e32 v1, v1, v11
	v_lshlrev_b32_e32 v11, 24, v0
	v_not_b32_e32 v0, v11
	v_xor_b32_e32 v3, vcc_lo, v3
	v_cmp_gt_i64_e32 vcc, 0, v[10:11]
	v_ashrrev_i32_e32 v0, 31, v0
	v_and_b32_e32 v2, v2, v3
	v_xor_b32_e32 v3, vcc_hi, v0
	v_xor_b32_e32 v0, vcc_lo, v0
	v_and_b32_e32 v0, v2, v0
	v_and_b32_e32 v1, v1, v3
	v_mbcnt_lo_u32_b32 v2, v0, 0
	v_mbcnt_hi_u32_b32 v11, v1, v2
	v_cmp_eq_u32_e32 vcc, 0, v11
	v_cmp_ne_u64_e64 s[22:23], 0, v[0:1]
	s_and_b64 s[30:31], s[22:23], vcc
	ds_write2_b64 v12, v[6:7], v[8:9] offset0:8 offset1:9
	s_waitcnt lgkmcnt(0)
	s_barrier
	s_waitcnt lgkmcnt(0)
	; wave barrier
	s_and_saveexec_b64 s[22:23], s[30:31]
	s_cbranch_execz .LBB50_5
; %bb.4:                                ;   in Loop: Header=BB50_3 Depth=1
	v_bcnt_u32_b32 v0, v0, 0
	v_bcnt_u32_b32 v0, v1, v0
	ds_write_b32 v26, v0
.LBB50_5:                               ;   in Loop: Header=BB50_3 Depth=1
	s_or_b64 exec, exec, s[22:23]
	; wave barrier
	s_waitcnt lgkmcnt(0)
	s_barrier
	ds_read2_b64 v[0:3], v12 offset0:8 offset1:9
	s_waitcnt lgkmcnt(0)
	v_add_u32_e32 v27, v1, v0
	v_add3_u32 v3, v27, v2, v3
	s_nop 1
	v_mov_b32_dpp v27, v3 row_shr:1 row_mask:0xf bank_mask:0xf
	v_cndmask_b32_e64 v27, v27, 0, s[14:15]
	v_add_u32_e32 v3, v27, v3
	s_nop 1
	v_mov_b32_dpp v27, v3 row_shr:2 row_mask:0xf bank_mask:0xf
	v_cndmask_b32_e64 v27, 0, v27, s[12:13]
	v_add_u32_e32 v3, v3, v27
	;; [unrolled: 4-line block ×4, first 2 shown]
	s_nop 1
	v_mov_b32_dpp v27, v3 row_bcast:15 row_mask:0xf bank_mask:0xf
	v_cndmask_b32_e64 v27, v27, 0, s[20:21]
	v_add_u32_e32 v3, v3, v27
	s_nop 1
	v_mov_b32_dpp v27, v3 row_bcast:31 row_mask:0xf bank_mask:0xf
	v_cndmask_b32_e64 v27, 0, v27, s[16:17]
	v_add_u32_e32 v3, v3, v27
	s_and_saveexec_b64 s[22:23], s[18:19]
	s_cbranch_execz .LBB50_7
; %bb.6:                                ;   in Loop: Header=BB50_3 Depth=1
	ds_write_b32 v16, v3
.LBB50_7:                               ;   in Loop: Header=BB50_3 Depth=1
	s_or_b64 exec, exec, s[22:23]
	s_waitcnt lgkmcnt(0)
	s_barrier
	s_and_saveexec_b64 s[22:23], s[6:7]
	s_cbranch_execz .LBB50_9
; %bb.8:                                ;   in Loop: Header=BB50_3 Depth=1
	ds_read_b32 v27, v15
	s_waitcnt lgkmcnt(0)
	s_nop 0
	v_mov_b32_dpp v28, v27 row_shr:1 row_mask:0xf bank_mask:0xf
	v_cndmask_b32_e64 v28, v28, 0, s[14:15]
	v_add_u32_e32 v27, v28, v27
	s_nop 1
	v_mov_b32_dpp v28, v27 row_shr:2 row_mask:0xf bank_mask:0xf
	v_cndmask_b32_e64 v28, 0, v28, s[12:13]
	v_add_u32_e32 v27, v27, v28
	;; [unrolled: 4-line block ×4, first 2 shown]
	ds_write_b32 v15, v27
.LBB50_9:                               ;   in Loop: Header=BB50_3 Depth=1
	s_or_b64 exec, exec, s[22:23]
	v_mov_b32_e32 v27, 0
	s_waitcnt lgkmcnt(0)
	s_barrier
	s_and_saveexec_b64 s[22:23], s[4:5]
	s_cbranch_execz .LBB50_11
; %bb.10:                               ;   in Loop: Header=BB50_3 Depth=1
	ds_read_b32 v27, v14
.LBB50_11:                              ;   in Loop: Header=BB50_3 Depth=1
	s_or_b64 exec, exec, s[22:23]
	s_waitcnt lgkmcnt(0)
	v_add_u32_e32 v3, v27, v3
	ds_bpermute_b32 v3, v13, v3
	s_add_i32 s28, s28, 8
	s_cmp_ge_u32 s28, s29
	s_waitcnt lgkmcnt(0)
	v_cndmask_b32_e64 v3, v3, v27, s[0:1]
	v_cndmask_b32_e64 v28, v3, 0, s[2:3]
	v_add_u32_e32 v29, v28, v0
	v_add_u32_e32 v0, v29, v1
	;; [unrolled: 1-line block ×3, first 2 shown]
	ds_write2_b64 v12, v[28:29], v[0:1] offset0:8 offset1:9
	s_waitcnt lgkmcnt(0)
	s_barrier
	ds_read_b32 v0, v26
	s_waitcnt lgkmcnt(0)
	v_add_u32_e32 v0, v0, v11
	v_lshlrev_b32_e32 v1, 1, v0
	s_cbranch_scc0 .LBB50_2
; %bb.12:
                                        ; implicit-def: $vgpr2
                                        ; implicit-def: $vgpr3
                                        ; implicit-def: $sgpr25
.LBB50_13:
	s_barrier
	ds_write_b16 v1, v25
	s_waitcnt lgkmcnt(0)
	s_barrier
	ds_read_u16 v1, v5
	s_mov_b64 s[22:23], 0
	s_waitcnt lgkmcnt(0)
	s_barrier
	ds_write_b8 v0, v24
	s_waitcnt lgkmcnt(0)
	s_barrier
	s_branch .LBB50_15
.LBB50_14:
	s_mov_b64 s[22:23], -1
                                        ; implicit-def: $vgpr1
.LBB50_15:
	v_add_co_u32_e32 v6, vcc, s24, v5
	v_addc_co_u32_e32 v7, vcc, 0, v23, vcc
	v_add_co_u32_e32 v8, vcc, s26, v4
	v_addc_co_u32_e32 v9, vcc, 0, v22, vcc
	s_and_b64 vcc, exec, s[22:23]
	s_cbranch_vccz .LBB50_33
; %bb.16:
	s_mov_b32 s22, 0
	s_mov_b32 s23, s22
	;; [unrolled: 1-line block ×4, first 2 shown]
	v_pk_mov_b32 v[0:1], s[22:23], s[22:23] op_sel:[0,1]
	v_pk_mov_b32 v[2:3], s[24:25], s[24:25] op_sel:[0,1]
	ds_write2_b64 v12, v[0:1], v[2:3] offset0:8 offset1:9
	v_and_b32_e32 v1, 1, v21
	v_add_co_u32_e32 v2, vcc, -1, v1
	v_mov_b32_e32 v0, 4
	v_addc_co_u32_e64 v3, s[22:23], 0, -1, vcc
	v_cmp_ne_u32_e32 vcc, 0, v1
	v_lshlrev_b16_sdwa v0, v0, v21 dst_sel:DWORD dst_unused:UNUSED_PAD src0_sel:DWORD src1_sel:BYTE_0
	v_xor_b32_e32 v1, vcc_hi, v3
	v_add_lshl_u32 v11, v19, v0, 2
	v_mov_b32_e32 v0, 0
	v_and_b32_e32 v3, exec_hi, v1
	v_lshlrev_b32_e32 v1, 30, v21
	v_xor_b32_e32 v2, vcc_lo, v2
	v_cmp_gt_i64_e32 vcc, 0, v[0:1]
	v_not_b32_e32 v1, v1
	v_ashrrev_i32_e32 v1, 31, v1
	v_and_b32_e32 v2, exec_lo, v2
	v_xor_b32_e32 v10, vcc_hi, v1
	v_xor_b32_e32 v1, vcc_lo, v1
	v_and_b32_e32 v2, v2, v1
	v_lshlrev_b32_e32 v1, 29, v21
	v_cmp_gt_i64_e32 vcc, 0, v[0:1]
	v_not_b32_e32 v1, v1
	v_ashrrev_i32_e32 v1, 31, v1
	v_and_b32_e32 v3, v3, v10
	v_xor_b32_e32 v10, vcc_hi, v1
	v_xor_b32_e32 v1, vcc_lo, v1
	v_and_b32_e32 v2, v2, v1
	v_lshlrev_b32_e32 v1, 28, v21
	v_cmp_gt_i64_e32 vcc, 0, v[0:1]
	v_not_b32_e32 v1, v1
	v_ashrrev_i32_e32 v1, 31, v1
	v_and_b32_e32 v3, v3, v10
	;; [unrolled: 8-line block ×5, first 2 shown]
	v_xor_b32_e32 v10, vcc_hi, v1
	v_xor_b32_e32 v1, vcc_lo, v1
	v_and_b32_e32 v2, v2, v1
	v_lshlrev_b32_e32 v1, 24, v21
	v_cmp_gt_i64_e32 vcc, 0, v[0:1]
	v_not_b32_e32 v0, v1
	v_ashrrev_i32_e32 v0, 31, v0
	v_xor_b32_e32 v1, vcc_hi, v0
	v_xor_b32_e32 v0, vcc_lo, v0
	v_and_b32_e32 v3, v3, v10
	v_and_b32_e32 v0, v2, v0
	;; [unrolled: 1-line block ×3, first 2 shown]
	v_mbcnt_lo_u32_b32 v2, v0, 0
	v_mbcnt_hi_u32_b32 v22, v1, v2
	v_cmp_eq_u32_e32 vcc, 0, v22
	v_cmp_ne_u64_e64 s[22:23], 0, v[0:1]
	s_and_b64 s[24:25], s[22:23], vcc
	s_waitcnt lgkmcnt(0)
	s_barrier
	s_waitcnt lgkmcnt(0)
	; wave barrier
	s_and_saveexec_b64 s[22:23], s[24:25]
	s_cbranch_execz .LBB50_18
; %bb.17:
	v_bcnt_u32_b32 v0, v0, 0
	v_bcnt_u32_b32 v0, v1, v0
	ds_write_b32 v11, v0 offset:64
.LBB50_18:
	s_or_b64 exec, exec, s[22:23]
	; wave barrier
	s_waitcnt lgkmcnt(0)
	s_barrier
	ds_read2_b64 v[0:3], v12 offset0:8 offset1:9
	s_waitcnt lgkmcnt(0)
	v_add_u32_e32 v10, v1, v0
	v_add3_u32 v3, v10, v2, v3
	s_nop 1
	v_mov_b32_dpp v10, v3 row_shr:1 row_mask:0xf bank_mask:0xf
	v_cndmask_b32_e64 v10, v10, 0, s[14:15]
	v_add_u32_e32 v3, v10, v3
	s_nop 1
	v_mov_b32_dpp v10, v3 row_shr:2 row_mask:0xf bank_mask:0xf
	v_cndmask_b32_e64 v10, 0, v10, s[12:13]
	v_add_u32_e32 v3, v3, v10
	;; [unrolled: 4-line block ×4, first 2 shown]
	s_nop 1
	v_mov_b32_dpp v10, v3 row_bcast:15 row_mask:0xf bank_mask:0xf
	v_cndmask_b32_e64 v10, v10, 0, s[20:21]
	v_add_u32_e32 v3, v3, v10
	s_nop 1
	v_mov_b32_dpp v10, v3 row_bcast:31 row_mask:0xf bank_mask:0xf
	v_cndmask_b32_e64 v10, 0, v10, s[16:17]
	v_add_u32_e32 v3, v3, v10
	s_and_saveexec_b64 s[22:23], s[18:19]
	s_cbranch_execz .LBB50_20
; %bb.19:
	ds_write_b32 v16, v3
.LBB50_20:
	s_or_b64 exec, exec, s[22:23]
	s_waitcnt lgkmcnt(0)
	s_barrier
	s_and_saveexec_b64 s[22:23], s[6:7]
	s_cbranch_execz .LBB50_22
; %bb.21:
	ds_read_b32 v10, v15
	s_waitcnt lgkmcnt(0)
	s_nop 0
	v_mov_b32_dpp v23, v10 row_shr:1 row_mask:0xf bank_mask:0xf
	v_cndmask_b32_e64 v23, v23, 0, s[14:15]
	v_add_u32_e32 v10, v23, v10
	s_nop 1
	v_mov_b32_dpp v23, v10 row_shr:2 row_mask:0xf bank_mask:0xf
	v_cndmask_b32_e64 v23, 0, v23, s[12:13]
	v_add_u32_e32 v10, v10, v23
	s_nop 1
	v_mov_b32_dpp v23, v10 row_shr:4 row_mask:0xf bank_mask:0xf
	v_cndmask_b32_e64 v23, 0, v23, s[10:11]
	v_add_u32_e32 v10, v10, v23
	s_nop 1
	v_mov_b32_dpp v23, v10 row_shr:8 row_mask:0xf bank_mask:0xf
	v_cndmask_b32_e64 v23, 0, v23, s[8:9]
	v_add_u32_e32 v10, v10, v23
	ds_write_b32 v15, v10
.LBB50_22:
	s_or_b64 exec, exec, s[22:23]
	v_mov_b32_e32 v10, 0
	v_mov_b32_e32 v23, 0
	s_waitcnt lgkmcnt(0)
	s_barrier
	s_and_saveexec_b64 s[22:23], s[4:5]
	s_cbranch_execz .LBB50_24
; %bb.23:
	ds_read_b32 v23, v14
.LBB50_24:
	s_or_b64 exec, exec, s[22:23]
	s_waitcnt lgkmcnt(0)
	v_add_u32_e32 v3, v23, v3
	ds_bpermute_b32 v3, v13, v3
	s_mov_b32 s22, 0
	s_mov_b32 s23, s22
	;; [unrolled: 1-line block ×4, first 2 shown]
	s_waitcnt lgkmcnt(0)
	v_cndmask_b32_e64 v3, v3, v23, s[0:1]
	v_cndmask_b32_e64 v24, v3, 0, s[2:3]
	v_add_u32_e32 v25, v24, v0
	v_add_u32_e32 v0, v25, v1
	;; [unrolled: 1-line block ×3, first 2 shown]
	ds_write2_b64 v12, v[24:25], v[0:1] offset0:8 offset1:9
	s_waitcnt lgkmcnt(0)
	s_barrier
	ds_read_b32 v0, v11 offset:64
	s_waitcnt lgkmcnt(0)
	s_barrier
	v_pk_mov_b32 v[2:3], s[24:25], s[24:25] op_sel:[0,1]
	v_add_u32_e32 v0, v0, v22
	v_lshlrev_b32_e32 v1, 1, v0
	ds_write_b16 v1, v21
	s_waitcnt lgkmcnt(0)
	s_barrier
	ds_read_u16 v20, v20
	s_waitcnt lgkmcnt(0)
	s_barrier
	s_waitcnt vmcnt(0)
	ds_write_b8 v0, v17
	v_pk_mov_b32 v[0:1], s[22:23], s[22:23] op_sel:[0,1]
	s_waitcnt lgkmcnt(0)
	s_barrier
	ds_read_u8 v17, v18
	s_waitcnt lgkmcnt(0)
	s_barrier
	ds_write2_b64 v12, v[0:1], v[2:3] offset0:8 offset1:9
	v_mov_b32_e32 v0, 4
	v_lshlrev_b16_sdwa v0, v0, v20 dst_sel:DWORD dst_unused:UNUSED_PAD src0_sel:DWORD src1_sel:BYTE_1
	v_add_lshl_u32 v18, v19, v0, 2
	v_mov_b32_e32 v0, 1
	v_and_b32_sdwa v0, v20, v0 dst_sel:DWORD dst_unused:UNUSED_PAD src0_sel:BYTE_1 src1_sel:DWORD
	v_add_co_u32_e32 v1, vcc, -1, v0
	v_addc_co_u32_e64 v2, s[22:23], 0, -1, vcc
	v_cmp_ne_u32_e32 vcc, 0, v0
	v_xor_b32_e32 v0, vcc_hi, v2
	v_mov_b32_e32 v2, 30
	v_lshlrev_b32_sdwa v11, v2, v20 dst_sel:DWORD dst_unused:UNUSED_PAD src0_sel:DWORD src1_sel:BYTE_1
	v_not_b32_e32 v2, v11
	v_xor_b32_e32 v1, vcc_lo, v1
	v_cmp_gt_i64_e32 vcc, 0, v[10:11]
	v_ashrrev_i32_e32 v2, 31, v2
	v_and_b32_e32 v1, exec_lo, v1
	v_xor_b32_e32 v3, vcc_hi, v2
	v_xor_b32_e32 v2, vcc_lo, v2
	v_and_b32_e32 v1, v1, v2
	v_mov_b32_e32 v2, 29
	v_lshlrev_b32_sdwa v11, v2, v20 dst_sel:DWORD dst_unused:UNUSED_PAD src0_sel:DWORD src1_sel:BYTE_1
	v_not_b32_e32 v2, v11
	v_and_b32_e32 v0, exec_hi, v0
	v_cmp_gt_i64_e32 vcc, 0, v[10:11]
	v_ashrrev_i32_e32 v2, 31, v2
	v_and_b32_e32 v0, v0, v3
	v_xor_b32_e32 v3, vcc_hi, v2
	v_xor_b32_e32 v2, vcc_lo, v2
	v_and_b32_e32 v1, v1, v2
	v_mov_b32_e32 v2, 28
	v_lshlrev_b32_sdwa v11, v2, v20 dst_sel:DWORD dst_unused:UNUSED_PAD src0_sel:DWORD src1_sel:BYTE_1
	v_not_b32_e32 v2, v11
	v_cmp_gt_i64_e32 vcc, 0, v[10:11]
	v_ashrrev_i32_e32 v2, 31, v2
	v_and_b32_e32 v0, v0, v3
	v_xor_b32_e32 v3, vcc_hi, v2
	v_xor_b32_e32 v2, vcc_lo, v2
	v_and_b32_e32 v1, v1, v2
	v_mov_b32_e32 v2, 27
	v_lshlrev_b32_sdwa v11, v2, v20 dst_sel:DWORD dst_unused:UNUSED_PAD src0_sel:DWORD src1_sel:BYTE_1
	v_not_b32_e32 v2, v11
	;; [unrolled: 9-line block ×5, first 2 shown]
	v_cmp_gt_i64_e32 vcc, 0, v[10:11]
	v_ashrrev_i32_e32 v1, 31, v1
	v_and_b32_e32 v0, v0, v3
	v_xor_b32_e32 v3, vcc_hi, v1
	v_xor_b32_e32 v10, vcc_lo, v1
	v_and_b32_e32 v1, v0, v3
	v_and_b32_e32 v0, v2, v10
	v_mbcnt_lo_u32_b32 v2, v0, 0
	v_mbcnt_hi_u32_b32 v10, v1, v2
	v_cmp_eq_u32_e32 vcc, 0, v10
	v_cmp_ne_u64_e64 s[22:23], 0, v[0:1]
	s_and_b64 s[24:25], s[22:23], vcc
	s_waitcnt lgkmcnt(0)
	s_barrier
	s_waitcnt lgkmcnt(0)
	; wave barrier
	s_and_saveexec_b64 s[22:23], s[24:25]
	s_cbranch_execz .LBB50_26
; %bb.25:
	v_bcnt_u32_b32 v0, v0, 0
	v_bcnt_u32_b32 v0, v1, v0
	ds_write_b32 v18, v0 offset:64
.LBB50_26:
	s_or_b64 exec, exec, s[22:23]
	; wave barrier
	s_waitcnt lgkmcnt(0)
	s_barrier
	ds_read2_b64 v[0:3], v12 offset0:8 offset1:9
	s_waitcnt lgkmcnt(0)
	v_add_u32_e32 v11, v1, v0
	v_add3_u32 v3, v11, v2, v3
	s_nop 1
	v_mov_b32_dpp v11, v3 row_shr:1 row_mask:0xf bank_mask:0xf
	v_cndmask_b32_e64 v11, v11, 0, s[14:15]
	v_add_u32_e32 v3, v11, v3
	s_nop 1
	v_mov_b32_dpp v11, v3 row_shr:2 row_mask:0xf bank_mask:0xf
	v_cndmask_b32_e64 v11, 0, v11, s[12:13]
	v_add_u32_e32 v3, v3, v11
	;; [unrolled: 4-line block ×4, first 2 shown]
	s_nop 1
	v_mov_b32_dpp v11, v3 row_bcast:15 row_mask:0xf bank_mask:0xf
	v_cndmask_b32_e64 v11, v11, 0, s[20:21]
	v_add_u32_e32 v3, v3, v11
	s_nop 1
	v_mov_b32_dpp v11, v3 row_bcast:31 row_mask:0xf bank_mask:0xf
	v_cndmask_b32_e64 v11, 0, v11, s[16:17]
	v_add_u32_e32 v3, v3, v11
	s_and_saveexec_b64 s[16:17], s[18:19]
	s_cbranch_execz .LBB50_28
; %bb.27:
	ds_write_b32 v16, v3
.LBB50_28:
	s_or_b64 exec, exec, s[16:17]
	s_waitcnt lgkmcnt(0)
	s_barrier
	s_and_saveexec_b64 s[16:17], s[6:7]
	s_cbranch_execz .LBB50_30
; %bb.29:
	ds_read_b32 v11, v15
	s_waitcnt lgkmcnt(0)
	s_nop 0
	v_mov_b32_dpp v16, v11 row_shr:1 row_mask:0xf bank_mask:0xf
	v_cndmask_b32_e64 v16, v16, 0, s[14:15]
	v_add_u32_e32 v11, v16, v11
	s_nop 1
	v_mov_b32_dpp v16, v11 row_shr:2 row_mask:0xf bank_mask:0xf
	v_cndmask_b32_e64 v16, 0, v16, s[12:13]
	v_add_u32_e32 v11, v11, v16
	;; [unrolled: 4-line block ×4, first 2 shown]
	ds_write_b32 v15, v11
.LBB50_30:
	s_or_b64 exec, exec, s[16:17]
	v_mov_b32_e32 v11, 0
	s_waitcnt lgkmcnt(0)
	s_barrier
	s_and_saveexec_b64 s[6:7], s[4:5]
	s_cbranch_execz .LBB50_32
; %bb.31:
	ds_read_b32 v11, v14
.LBB50_32:
	s_or_b64 exec, exec, s[6:7]
	s_waitcnt lgkmcnt(0)
	v_add_u32_e32 v3, v11, v3
	ds_bpermute_b32 v3, v13, v3
	s_waitcnt lgkmcnt(0)
	v_cndmask_b32_e64 v3, v3, v11, s[0:1]
	v_cndmask_b32_e64 v14, v3, 0, s[2:3]
	v_add_u32_e32 v15, v14, v0
	v_add_u32_e32 v0, v15, v1
	;; [unrolled: 1-line block ×3, first 2 shown]
	ds_write2_b64 v12, v[14:15], v[0:1] offset0:8 offset1:9
	s_waitcnt lgkmcnt(0)
	s_barrier
	ds_read_b32 v0, v18 offset:64
	s_waitcnt lgkmcnt(0)
	s_barrier
	v_add_u32_e32 v0, v0, v10
	v_lshlrev_b32_e32 v1, 1, v0
	ds_write_b16 v1, v20
	s_waitcnt lgkmcnt(0)
	s_barrier
	ds_read_u16 v1, v5
	s_waitcnt lgkmcnt(0)
	s_barrier
	ds_write_b8 v0, v17
	s_waitcnt lgkmcnt(0)
	s_barrier
.LBB50_33:
	ds_read_u8 v0, v4
	v_xor_b32_e32 v1, -1, v1
	global_store_short v[6:7], v1, off
	s_waitcnt lgkmcnt(0)
	global_store_byte v[8:9], v0, off
	s_endpgm
	.section	.rodata,"a",@progbits
	.p2align	6, 0x0
	.amdhsa_kernel _Z21sort_key_value_kernelILj1024ELj1ELb0ELb1EtcEvPT3_PT4_jj
		.amdhsa_group_segment_fixed_size 16448
		.amdhsa_private_segment_fixed_size 0
		.amdhsa_kernarg_size 280
		.amdhsa_user_sgpr_count 6
		.amdhsa_user_sgpr_private_segment_buffer 1
		.amdhsa_user_sgpr_dispatch_ptr 0
		.amdhsa_user_sgpr_queue_ptr 0
		.amdhsa_user_sgpr_kernarg_segment_ptr 1
		.amdhsa_user_sgpr_dispatch_id 0
		.amdhsa_user_sgpr_flat_scratch_init 0
		.amdhsa_user_sgpr_kernarg_preload_length 0
		.amdhsa_user_sgpr_kernarg_preload_offset 0
		.amdhsa_user_sgpr_private_segment_size 0
		.amdhsa_uses_dynamic_stack 0
		.amdhsa_system_sgpr_private_segment_wavefront_offset 0
		.amdhsa_system_sgpr_workgroup_id_x 1
		.amdhsa_system_sgpr_workgroup_id_y 0
		.amdhsa_system_sgpr_workgroup_id_z 0
		.amdhsa_system_sgpr_workgroup_info 0
		.amdhsa_system_vgpr_workitem_id 2
		.amdhsa_next_free_vgpr 30
		.amdhsa_next_free_sgpr 36
		.amdhsa_accum_offset 32
		.amdhsa_reserve_vcc 1
		.amdhsa_reserve_flat_scratch 0
		.amdhsa_float_round_mode_32 0
		.amdhsa_float_round_mode_16_64 0
		.amdhsa_float_denorm_mode_32 3
		.amdhsa_float_denorm_mode_16_64 3
		.amdhsa_dx10_clamp 1
		.amdhsa_ieee_mode 1
		.amdhsa_fp16_overflow 0
		.amdhsa_tg_split 0
		.amdhsa_exception_fp_ieee_invalid_op 0
		.amdhsa_exception_fp_denorm_src 0
		.amdhsa_exception_fp_ieee_div_zero 0
		.amdhsa_exception_fp_ieee_overflow 0
		.amdhsa_exception_fp_ieee_underflow 0
		.amdhsa_exception_fp_ieee_inexact 0
		.amdhsa_exception_int_div_zero 0
	.end_amdhsa_kernel
	.section	.text._Z21sort_key_value_kernelILj1024ELj1ELb0ELb1EtcEvPT3_PT4_jj,"axG",@progbits,_Z21sort_key_value_kernelILj1024ELj1ELb0ELb1EtcEvPT3_PT4_jj,comdat
.Lfunc_end50:
	.size	_Z21sort_key_value_kernelILj1024ELj1ELb0ELb1EtcEvPT3_PT4_jj, .Lfunc_end50-_Z21sort_key_value_kernelILj1024ELj1ELb0ELb1EtcEvPT3_PT4_jj
                                        ; -- End function
	.section	.AMDGPU.csdata,"",@progbits
; Kernel info:
; codeLenInByte = 3352
; NumSgprs: 40
; NumVgprs: 30
; NumAgprs: 0
; TotalNumVgprs: 30
; ScratchSize: 0
; MemoryBound: 0
; FloatMode: 240
; IeeeMode: 1
; LDSByteSize: 16448 bytes/workgroup (compile time only)
; SGPRBlocks: 4
; VGPRBlocks: 3
; NumSGPRsForWavesPerEU: 40
; NumVGPRsForWavesPerEU: 30
; AccumOffset: 32
; Occupancy: 8
; WaveLimiterHint : 0
; COMPUTE_PGM_RSRC2:SCRATCH_EN: 0
; COMPUTE_PGM_RSRC2:USER_SGPR: 6
; COMPUTE_PGM_RSRC2:TRAP_HANDLER: 0
; COMPUTE_PGM_RSRC2:TGID_X_EN: 1
; COMPUTE_PGM_RSRC2:TGID_Y_EN: 0
; COMPUTE_PGM_RSRC2:TGID_Z_EN: 0
; COMPUTE_PGM_RSRC2:TIDIG_COMP_CNT: 2
; COMPUTE_PGM_RSRC3_GFX90A:ACCUM_OFFSET: 7
; COMPUTE_PGM_RSRC3_GFX90A:TG_SPLIT: 0
	.section	.text._Z21sort_key_value_kernelILj256ELj1ELb0ELb0EjiEvPT3_PT4_jj,"axG",@progbits,_Z21sort_key_value_kernelILj256ELj1ELb0ELb0EjiEvPT3_PT4_jj,comdat
	.protected	_Z21sort_key_value_kernelILj256ELj1ELb0ELb0EjiEvPT3_PT4_jj ; -- Begin function _Z21sort_key_value_kernelILj256ELj1ELb0ELb0EjiEvPT3_PT4_jj
	.globl	_Z21sort_key_value_kernelILj256ELj1ELb0ELb0EjiEvPT3_PT4_jj
	.p2align	8
	.type	_Z21sort_key_value_kernelILj256ELj1ELb0ELb0EjiEvPT3_PT4_jj,@function
_Z21sort_key_value_kernelILj256ELj1ELb0ELb0EjiEvPT3_PT4_jj: ; @_Z21sort_key_value_kernelILj256ELj1ELb0ELb0EjiEvPT3_PT4_jj
; %bb.0:
	s_load_dwordx4 s[0:3], s[4:5], 0x0
	s_load_dwordx2 s[34:35], s[4:5], 0x10
	s_lshl_b32 s26, s6, 8
	s_mov_b32 s27, 0
	s_lshl_b64 s[6:7], s[26:27], 2
	s_waitcnt lgkmcnt(0)
	s_add_u32 s28, s0, s6
	s_addc_u32 s29, s1, s7
	v_and_b32_e32 v2, 0x3ff, v0
	v_lshlrev_b32_e32 v19, 2, v2
	s_add_u32 s30, s2, s6
	s_addc_u32 s31, s3, s7
	global_load_dword v18, v19, s[28:29]
	global_load_dword v17, v19, s[30:31]
	s_load_dword s4, s[4:5], 0x24
	s_cmp_eq_u32 s34, 0
	s_cselect_b64 s[0:1], -1, 0
	s_cmp_eq_u32 s35, 32
	s_cselect_b64 s[2:3], -1, 0
	s_and_b64 s[36:37], s[0:1], s[2:3]
	s_waitcnt lgkmcnt(0)
	s_lshr_b32 s0, s4, 16
	v_bfe_u32 v1, v0, 10, 10
	v_bfe_u32 v0, v0, 20, 10
	s_and_b32 s1, s4, 0xffff
	v_mad_u32_u24 v0, v0, s0, v1
	v_mad_u64_u32 v[0:1], s[0:1], v0, s1, v[2:3]
	v_lshrrev_b32_e32 v15, 6, v0
	v_mbcnt_lo_u32_b32 v0, -1, 0
	v_mbcnt_hi_u32_b32 v0, -1, v0
	v_and_b32_e32 v1, 15, v0
	v_cmp_eq_u32_e64 s[24:25], 0, v1
	v_cmp_lt_u32_e64 s[22:23], 1, v1
	v_cmp_lt_u32_e64 s[20:21], 3, v1
	;; [unrolled: 1-line block ×3, first 2 shown]
	v_and_b32_e32 v1, 16, v0
	v_cmp_eq_u32_e64 s[16:17], 0, v1
	v_and_b32_e32 v1, 0xc0, v2
	v_or_b32_e32 v3, 63, v1
	v_cmp_eq_u32_e64 s[14:15], v3, v2
	v_add_u32_e32 v3, -1, v0
	v_and_b32_e32 v4, 64, v0
	v_cmp_lt_i32_e32 vcc, v3, v4
	v_cndmask_b32_e32 v3, v3, v0, vcc
	v_lshlrev_b32_e32 v12, 2, v3
	v_lshrrev_b32_e32 v3, 4, v2
	v_lshlrev_b32_e32 v11, 4, v2
	v_cmp_gt_u32_e64 s[6:7], 4, v2
	v_cmp_lt_u32_e64 s[4:5], 63, v2
	v_cmp_eq_u32_e64 s[2:3], 0, v2
	v_and_b32_e32 v14, 12, v3
	v_mul_i32_i24_e32 v2, -12, v2
	v_and_b32_e32 v3, 3, v0
	v_mov_b32_e32 v21, s29
	v_mov_b32_e32 v20, s31
	v_cmp_lt_u32_e64 s[12:13], 31, v0
	v_cmp_eq_u32_e64 s[0:1], 0, v0
	v_cmp_eq_u32_e64 s[10:11], 0, v3
	v_cmp_lt_u32_e64 s[8:9], 1, v3
	v_add_u32_e32 v13, -4, v14
	v_add_lshl_u32 v16, v0, v1, 2
	s_and_b64 vcc, exec, s[36:37]
	v_add_u32_e32 v10, v11, v2
	s_cbranch_vccnz .LBB51_14
; %bb.1:
	s_mov_b32 s26, s27
	s_mov_b32 s36, s27
	s_mov_b32 s37, s27
	s_sub_i32 s29, s35, s34
	v_pk_mov_b32 v[4:5], s[26:27], s[26:27] op_sel:[0,1]
	v_pk_mov_b32 v[6:7], s[36:37], s[36:37] op_sel:[0,1]
	v_mov_b32_e32 v8, 0
	s_waitcnt vmcnt(0)
	v_mov_b32_e32 v2, v17
	v_mov_b32_e32 v1, v18
	s_branch .LBB51_3
.LBB51_2:                               ;   in Loop: Header=BB51_3 Depth=1
	s_barrier
	ds_write_b32 v0, v23
	s_waitcnt lgkmcnt(0)
	s_barrier
	ds_read_b32 v1, v16
	s_waitcnt lgkmcnt(0)
	s_barrier
	ds_write_b32 v0, v22
	s_waitcnt lgkmcnt(0)
	s_barrier
	ds_read_b32 v2, v16
	s_add_i32 s29, s29, -8
	s_waitcnt lgkmcnt(0)
	s_barrier
	s_cbranch_execz .LBB51_13
.LBB51_3:                               ; =>This Inner Loop Header: Depth=1
	v_mov_b32_e32 v23, v1
	s_min_u32 s26, s29, 8
	v_lshrrev_b32_e32 v0, s34, v23
	v_bfe_u32 v0, v0, 0, s26
	v_lshl_add_u32 v1, v0, 2, v15
	v_lshl_add_u32 v24, v1, 2, 16
	v_and_b32_e32 v1, 1, v0
	v_mov_b32_e32 v22, v2
	v_add_co_u32_e32 v2, vcc, -1, v1
	v_addc_co_u32_e64 v3, s[26:27], 0, -1, vcc
	v_cmp_ne_u32_e32 vcc, 0, v1
	v_lshlrev_b32_e32 v9, 30, v0
	v_xor_b32_e32 v1, vcc_hi, v3
	v_not_b32_e32 v3, v9
	v_xor_b32_e32 v2, vcc_lo, v2
	v_cmp_gt_i64_e32 vcc, 0, v[8:9]
	v_ashrrev_i32_e32 v3, 31, v3
	v_and_b32_e32 v1, exec_hi, v1
	v_xor_b32_e32 v9, vcc_hi, v3
	v_and_b32_e32 v2, exec_lo, v2
	v_xor_b32_e32 v3, vcc_lo, v3
	v_and_b32_e32 v1, v1, v9
	v_lshlrev_b32_e32 v9, 29, v0
	v_and_b32_e32 v2, v2, v3
	v_not_b32_e32 v3, v9
	v_cmp_gt_i64_e32 vcc, 0, v[8:9]
	v_ashrrev_i32_e32 v3, 31, v3
	v_xor_b32_e32 v9, vcc_hi, v3
	v_xor_b32_e32 v3, vcc_lo, v3
	v_and_b32_e32 v1, v1, v9
	v_lshlrev_b32_e32 v9, 28, v0
	v_and_b32_e32 v2, v2, v3
	v_not_b32_e32 v3, v9
	v_cmp_gt_i64_e32 vcc, 0, v[8:9]
	v_ashrrev_i32_e32 v3, 31, v3
	v_xor_b32_e32 v9, vcc_hi, v3
	v_xor_b32_e32 v3, vcc_lo, v3
	v_and_b32_e32 v1, v1, v9
	v_lshlrev_b32_e32 v9, 27, v0
	v_and_b32_e32 v2, v2, v3
	v_not_b32_e32 v3, v9
	v_cmp_gt_i64_e32 vcc, 0, v[8:9]
	v_ashrrev_i32_e32 v3, 31, v3
	v_xor_b32_e32 v9, vcc_hi, v3
	v_xor_b32_e32 v3, vcc_lo, v3
	v_and_b32_e32 v1, v1, v9
	v_lshlrev_b32_e32 v9, 26, v0
	v_and_b32_e32 v2, v2, v3
	v_not_b32_e32 v3, v9
	v_cmp_gt_i64_e32 vcc, 0, v[8:9]
	v_ashrrev_i32_e32 v3, 31, v3
	v_xor_b32_e32 v9, vcc_hi, v3
	v_xor_b32_e32 v3, vcc_lo, v3
	v_and_b32_e32 v1, v1, v9
	v_lshlrev_b32_e32 v9, 25, v0
	v_and_b32_e32 v2, v2, v3
	v_not_b32_e32 v3, v9
	v_cmp_gt_i64_e32 vcc, 0, v[8:9]
	v_ashrrev_i32_e32 v3, 31, v3
	v_xor_b32_e32 v9, vcc_hi, v3
	v_and_b32_e32 v1, v1, v9
	v_lshlrev_b32_e32 v9, 24, v0
	v_not_b32_e32 v0, v9
	v_xor_b32_e32 v3, vcc_lo, v3
	v_cmp_gt_i64_e32 vcc, 0, v[8:9]
	v_ashrrev_i32_e32 v0, 31, v0
	v_and_b32_e32 v2, v2, v3
	v_xor_b32_e32 v3, vcc_hi, v0
	v_xor_b32_e32 v0, vcc_lo, v0
	v_and_b32_e32 v0, v2, v0
	v_and_b32_e32 v1, v1, v3
	v_mbcnt_lo_u32_b32 v2, v0, 0
	v_mbcnt_hi_u32_b32 v9, v1, v2
	v_cmp_eq_u32_e32 vcc, 0, v9
	v_cmp_ne_u64_e64 s[26:27], 0, v[0:1]
	s_and_b64 s[36:37], s[26:27], vcc
	ds_write2_b64 v11, v[4:5], v[6:7] offset0:2 offset1:3
	s_waitcnt lgkmcnt(0)
	s_barrier
	s_waitcnt lgkmcnt(0)
	; wave barrier
	s_and_saveexec_b64 s[26:27], s[36:37]
	s_cbranch_execz .LBB51_5
; %bb.4:                                ;   in Loop: Header=BB51_3 Depth=1
	v_bcnt_u32_b32 v0, v0, 0
	v_bcnt_u32_b32 v0, v1, v0
	ds_write_b32 v24, v0
.LBB51_5:                               ;   in Loop: Header=BB51_3 Depth=1
	s_or_b64 exec, exec, s[26:27]
	; wave barrier
	s_waitcnt lgkmcnt(0)
	s_barrier
	ds_read2_b64 v[0:3], v11 offset0:2 offset1:3
	s_waitcnt lgkmcnt(0)
	v_add_u32_e32 v25, v1, v0
	v_add3_u32 v3, v25, v2, v3
	s_nop 1
	v_mov_b32_dpp v25, v3 row_shr:1 row_mask:0xf bank_mask:0xf
	v_cndmask_b32_e64 v25, v25, 0, s[24:25]
	v_add_u32_e32 v3, v25, v3
	s_nop 1
	v_mov_b32_dpp v25, v3 row_shr:2 row_mask:0xf bank_mask:0xf
	v_cndmask_b32_e64 v25, 0, v25, s[22:23]
	v_add_u32_e32 v3, v3, v25
	;; [unrolled: 4-line block ×4, first 2 shown]
	s_nop 1
	v_mov_b32_dpp v25, v3 row_bcast:15 row_mask:0xf bank_mask:0xf
	v_cndmask_b32_e64 v25, v25, 0, s[16:17]
	v_add_u32_e32 v3, v3, v25
	s_nop 1
	v_mov_b32_dpp v25, v3 row_bcast:31 row_mask:0xf bank_mask:0xf
	v_cndmask_b32_e64 v25, 0, v25, s[12:13]
	v_add_u32_e32 v3, v3, v25
	s_and_saveexec_b64 s[26:27], s[14:15]
	s_cbranch_execz .LBB51_7
; %bb.6:                                ;   in Loop: Header=BB51_3 Depth=1
	ds_write_b32 v14, v3
.LBB51_7:                               ;   in Loop: Header=BB51_3 Depth=1
	s_or_b64 exec, exec, s[26:27]
	s_waitcnt lgkmcnt(0)
	s_barrier
	s_and_saveexec_b64 s[26:27], s[6:7]
	s_cbranch_execz .LBB51_9
; %bb.8:                                ;   in Loop: Header=BB51_3 Depth=1
	ds_read_b32 v25, v10
	s_waitcnt lgkmcnt(0)
	s_nop 0
	v_mov_b32_dpp v26, v25 row_shr:1 row_mask:0xf bank_mask:0xf
	v_cndmask_b32_e64 v26, v26, 0, s[10:11]
	v_add_u32_e32 v25, v26, v25
	s_nop 1
	v_mov_b32_dpp v26, v25 row_shr:2 row_mask:0xf bank_mask:0xf
	v_cndmask_b32_e64 v26, 0, v26, s[8:9]
	v_add_u32_e32 v25, v25, v26
	ds_write_b32 v10, v25
.LBB51_9:                               ;   in Loop: Header=BB51_3 Depth=1
	s_or_b64 exec, exec, s[26:27]
	v_mov_b32_e32 v25, 0
	s_waitcnt lgkmcnt(0)
	s_barrier
	s_and_saveexec_b64 s[26:27], s[4:5]
	s_cbranch_execz .LBB51_11
; %bb.10:                               ;   in Loop: Header=BB51_3 Depth=1
	ds_read_b32 v25, v13
.LBB51_11:                              ;   in Loop: Header=BB51_3 Depth=1
	s_or_b64 exec, exec, s[26:27]
	s_waitcnt lgkmcnt(0)
	v_add_u32_e32 v3, v25, v3
	ds_bpermute_b32 v3, v12, v3
	s_add_i32 s34, s34, 8
	s_cmp_ge_u32 s34, s35
	s_waitcnt lgkmcnt(0)
	v_cndmask_b32_e64 v3, v3, v25, s[0:1]
	v_cndmask_b32_e64 v26, v3, 0, s[2:3]
	v_add_u32_e32 v27, v26, v0
	v_add_u32_e32 v0, v27, v1
	;; [unrolled: 1-line block ×3, first 2 shown]
	ds_write2_b64 v11, v[26:27], v[0:1] offset0:2 offset1:3
	s_waitcnt lgkmcnt(0)
	s_barrier
	ds_read_b32 v0, v24
	v_lshlrev_b32_e32 v1, 2, v9
	s_waitcnt lgkmcnt(0)
	v_lshl_add_u32 v0, v0, 2, v1
	s_cbranch_scc0 .LBB51_2
; %bb.12:
                                        ; implicit-def: $vgpr1
                                        ; implicit-def: $vgpr2
                                        ; implicit-def: $sgpr29
.LBB51_13:
	s_barrier
	ds_write_b32 v0, v23
	s_waitcnt lgkmcnt(0)
	s_barrier
	ds_read_b32 v1, v10
	s_mov_b64 s[26:27], 0
	s_waitcnt lgkmcnt(0)
	s_barrier
	ds_write_b32 v0, v22
	s_waitcnt lgkmcnt(0)
	s_barrier
	s_branch .LBB51_15
.LBB51_14:
	s_mov_b64 s[26:27], -1
                                        ; implicit-def: $vgpr1
.LBB51_15:
	v_add_co_u32_e32 v4, vcc, s28, v19
	v_addc_co_u32_e32 v5, vcc, 0, v21, vcc
	v_add_co_u32_e32 v6, vcc, s30, v19
	v_addc_co_u32_e32 v7, vcc, 0, v20, vcc
	s_and_b64 vcc, exec, s[26:27]
	s_cbranch_vccz .LBB51_49
; %bb.16:
	s_mov_b32 s26, 0
	s_mov_b32 s27, s26
	;; [unrolled: 1-line block ×4, first 2 shown]
	v_pk_mov_b32 v[0:1], s[26:27], s[26:27] op_sel:[0,1]
	v_pk_mov_b32 v[2:3], s[28:29], s[28:29] op_sel:[0,1]
	ds_write2_b64 v11, v[0:1], v[2:3] offset0:2 offset1:3
	s_waitcnt vmcnt(1)
	v_and_b32_e32 v1, 1, v18
	v_add_co_u32_e32 v2, vcc, -1, v1
	v_mov_b32_e32 v0, 2
	v_addc_co_u32_e64 v3, s[26:27], 0, -1, vcc
	v_cmp_ne_u32_e32 vcc, 0, v1
	v_lshlrev_b32_sdwa v0, v0, v18 dst_sel:DWORD dst_unused:UNUSED_PAD src0_sel:DWORD src1_sel:BYTE_0
	v_xor_b32_e32 v1, vcc_hi, v3
	v_add_lshl_u32 v9, v0, v15, 2
	v_mov_b32_e32 v0, 0
	v_and_b32_e32 v3, exec_hi, v1
	v_lshlrev_b32_e32 v1, 30, v18
	v_xor_b32_e32 v2, vcc_lo, v2
	v_cmp_gt_i64_e32 vcc, 0, v[0:1]
	v_not_b32_e32 v1, v1
	v_ashrrev_i32_e32 v1, 31, v1
	v_and_b32_e32 v2, exec_lo, v2
	v_xor_b32_e32 v8, vcc_hi, v1
	v_xor_b32_e32 v1, vcc_lo, v1
	v_and_b32_e32 v2, v2, v1
	v_lshlrev_b32_e32 v1, 29, v18
	v_cmp_gt_i64_e32 vcc, 0, v[0:1]
	v_not_b32_e32 v1, v1
	v_ashrrev_i32_e32 v1, 31, v1
	v_and_b32_e32 v3, v3, v8
	v_xor_b32_e32 v8, vcc_hi, v1
	v_xor_b32_e32 v1, vcc_lo, v1
	v_and_b32_e32 v2, v2, v1
	v_lshlrev_b32_e32 v1, 28, v18
	v_cmp_gt_i64_e32 vcc, 0, v[0:1]
	v_not_b32_e32 v1, v1
	v_ashrrev_i32_e32 v1, 31, v1
	v_and_b32_e32 v3, v3, v8
	;; [unrolled: 8-line block ×5, first 2 shown]
	v_xor_b32_e32 v8, vcc_hi, v1
	v_xor_b32_e32 v1, vcc_lo, v1
	v_and_b32_e32 v2, v2, v1
	v_lshlrev_b32_e32 v1, 24, v18
	v_cmp_gt_i64_e32 vcc, 0, v[0:1]
	v_not_b32_e32 v0, v1
	v_ashrrev_i32_e32 v0, 31, v0
	v_xor_b32_e32 v1, vcc_hi, v0
	v_xor_b32_e32 v0, vcc_lo, v0
	v_and_b32_e32 v3, v3, v8
	v_and_b32_e32 v0, v2, v0
	;; [unrolled: 1-line block ×3, first 2 shown]
	v_mbcnt_lo_u32_b32 v2, v0, 0
	v_mbcnt_hi_u32_b32 v19, v1, v2
	v_cmp_eq_u32_e32 vcc, 0, v19
	v_cmp_ne_u64_e64 s[26:27], 0, v[0:1]
	s_and_b64 s[28:29], s[26:27], vcc
	s_waitcnt lgkmcnt(0)
	s_barrier
	s_waitcnt lgkmcnt(0)
	; wave barrier
	s_and_saveexec_b64 s[26:27], s[28:29]
	s_cbranch_execz .LBB51_18
; %bb.17:
	v_bcnt_u32_b32 v0, v0, 0
	v_bcnt_u32_b32 v0, v1, v0
	ds_write_b32 v9, v0 offset:16
.LBB51_18:
	s_or_b64 exec, exec, s[26:27]
	; wave barrier
	s_waitcnt lgkmcnt(0)
	s_barrier
	ds_read2_b64 v[0:3], v11 offset0:2 offset1:3
	s_waitcnt lgkmcnt(0)
	v_add_u32_e32 v8, v1, v0
	v_add3_u32 v3, v8, v2, v3
	s_nop 1
	v_mov_b32_dpp v8, v3 row_shr:1 row_mask:0xf bank_mask:0xf
	v_cndmask_b32_e64 v8, v8, 0, s[24:25]
	v_add_u32_e32 v3, v8, v3
	s_nop 1
	v_mov_b32_dpp v8, v3 row_shr:2 row_mask:0xf bank_mask:0xf
	v_cndmask_b32_e64 v8, 0, v8, s[22:23]
	v_add_u32_e32 v3, v3, v8
	;; [unrolled: 4-line block ×4, first 2 shown]
	s_nop 1
	v_mov_b32_dpp v8, v3 row_bcast:15 row_mask:0xf bank_mask:0xf
	v_cndmask_b32_e64 v8, v8, 0, s[16:17]
	v_add_u32_e32 v3, v3, v8
	s_nop 1
	v_mov_b32_dpp v8, v3 row_bcast:31 row_mask:0xf bank_mask:0xf
	v_cndmask_b32_e64 v8, 0, v8, s[12:13]
	v_add_u32_e32 v3, v3, v8
	s_and_saveexec_b64 s[26:27], s[14:15]
	s_cbranch_execz .LBB51_20
; %bb.19:
	ds_write_b32 v14, v3
.LBB51_20:
	s_or_b64 exec, exec, s[26:27]
	s_waitcnt lgkmcnt(0)
	s_barrier
	s_and_saveexec_b64 s[26:27], s[6:7]
	s_cbranch_execz .LBB51_22
; %bb.21:
	ds_read_b32 v8, v10
	s_waitcnt lgkmcnt(0)
	s_nop 0
	v_mov_b32_dpp v20, v8 row_shr:1 row_mask:0xf bank_mask:0xf
	v_cndmask_b32_e64 v20, v20, 0, s[10:11]
	v_add_u32_e32 v8, v20, v8
	s_nop 1
	v_mov_b32_dpp v20, v8 row_shr:2 row_mask:0xf bank_mask:0xf
	v_cndmask_b32_e64 v20, 0, v20, s[8:9]
	v_add_u32_e32 v8, v8, v20
	ds_write_b32 v10, v8
.LBB51_22:
	s_or_b64 exec, exec, s[26:27]
	v_mov_b32_e32 v8, 0
	v_mov_b32_e32 v20, 0
	s_waitcnt lgkmcnt(0)
	s_barrier
	s_and_saveexec_b64 s[26:27], s[4:5]
	s_cbranch_execz .LBB51_24
; %bb.23:
	ds_read_b32 v20, v13
.LBB51_24:
	s_or_b64 exec, exec, s[26:27]
	s_waitcnt lgkmcnt(0)
	v_add_u32_e32 v3, v20, v3
	ds_bpermute_b32 v3, v12, v3
	s_mov_b32 s26, 0
	s_mov_b32 s27, s26
	;; [unrolled: 1-line block ×4, first 2 shown]
	s_waitcnt lgkmcnt(0)
	v_cndmask_b32_e64 v3, v3, v20, s[0:1]
	v_cndmask_b32_e64 v20, v3, 0, s[2:3]
	v_add_u32_e32 v21, v20, v0
	v_add_u32_e32 v0, v21, v1
	;; [unrolled: 1-line block ×3, first 2 shown]
	ds_write2_b64 v11, v[20:21], v[0:1] offset0:2 offset1:3
	s_waitcnt lgkmcnt(0)
	s_barrier
	ds_read_b32 v0, v9 offset:16
	v_lshlrev_b32_e32 v1, 2, v19
	s_waitcnt lgkmcnt(0)
	s_barrier
	v_lshl_add_u32 v0, v0, 2, v1
	ds_write_b32 v0, v18
	s_waitcnt lgkmcnt(0)
	s_barrier
	ds_read_b32 v18, v16
	s_waitcnt lgkmcnt(0)
	s_barrier
	s_waitcnt vmcnt(0)
	ds_write_b32 v0, v17
	v_pk_mov_b32 v[0:1], s[26:27], s[26:27] op_sel:[0,1]
	v_pk_mov_b32 v[2:3], s[28:29], s[28:29] op_sel:[0,1]
	s_waitcnt lgkmcnt(0)
	s_barrier
	ds_read_b32 v19, v16
	s_waitcnt lgkmcnt(0)
	s_barrier
	ds_write2_b64 v11, v[0:1], v[2:3] offset0:2 offset1:3
	v_mov_b32_e32 v1, 2
	v_lshlrev_b32_sdwa v1, v1, v18 dst_sel:DWORD dst_unused:UNUSED_PAD src0_sel:DWORD src1_sel:BYTE_1
	v_add_lshl_u32 v17, v1, v15, 2
	v_bfe_u32 v1, v18, 8, 1
	v_lshrrev_b32_e32 v0, 8, v18
	v_add_co_u32_e32 v2, vcc, -1, v1
	v_addc_co_u32_e64 v3, s[26:27], 0, -1, vcc
	v_cmp_ne_u32_e32 vcc, 0, v1
	v_lshlrev_b32_e32 v9, 30, v0
	v_xor_b32_e32 v1, vcc_hi, v3
	v_not_b32_e32 v3, v9
	v_xor_b32_e32 v2, vcc_lo, v2
	v_cmp_gt_i64_e32 vcc, 0, v[8:9]
	v_ashrrev_i32_e32 v3, 31, v3
	v_and_b32_e32 v1, exec_hi, v1
	v_xor_b32_e32 v9, vcc_hi, v3
	v_and_b32_e32 v2, exec_lo, v2
	v_xor_b32_e32 v3, vcc_lo, v3
	v_and_b32_e32 v1, v1, v9
	v_lshlrev_b32_e32 v9, 29, v0
	v_and_b32_e32 v2, v2, v3
	v_not_b32_e32 v3, v9
	v_cmp_gt_i64_e32 vcc, 0, v[8:9]
	v_ashrrev_i32_e32 v3, 31, v3
	v_xor_b32_e32 v9, vcc_hi, v3
	v_xor_b32_e32 v3, vcc_lo, v3
	v_and_b32_e32 v1, v1, v9
	v_lshlrev_b32_e32 v9, 28, v0
	v_and_b32_e32 v2, v2, v3
	v_not_b32_e32 v3, v9
	v_cmp_gt_i64_e32 vcc, 0, v[8:9]
	v_ashrrev_i32_e32 v3, 31, v3
	v_xor_b32_e32 v9, vcc_hi, v3
	;; [unrolled: 8-line block ×5, first 2 shown]
	v_and_b32_e32 v1, v1, v9
	v_lshlrev_b32_e32 v9, 24, v0
	v_not_b32_e32 v0, v9
	v_xor_b32_e32 v3, vcc_lo, v3
	v_cmp_gt_i64_e32 vcc, 0, v[8:9]
	v_ashrrev_i32_e32 v0, 31, v0
	v_and_b32_e32 v2, v2, v3
	v_xor_b32_e32 v3, vcc_hi, v0
	v_xor_b32_e32 v0, vcc_lo, v0
	v_and_b32_e32 v0, v2, v0
	v_and_b32_e32 v1, v1, v3
	v_mbcnt_lo_u32_b32 v2, v0, 0
	v_mbcnt_hi_u32_b32 v9, v1, v2
	v_cmp_eq_u32_e32 vcc, 0, v9
	v_cmp_ne_u64_e64 s[26:27], 0, v[0:1]
	s_and_b64 s[28:29], s[26:27], vcc
	s_waitcnt lgkmcnt(0)
	s_barrier
	s_waitcnt lgkmcnt(0)
	; wave barrier
	s_and_saveexec_b64 s[26:27], s[28:29]
	s_cbranch_execz .LBB51_26
; %bb.25:
	v_bcnt_u32_b32 v0, v0, 0
	v_bcnt_u32_b32 v0, v1, v0
	ds_write_b32 v17, v0 offset:16
.LBB51_26:
	s_or_b64 exec, exec, s[26:27]
	; wave barrier
	s_waitcnt lgkmcnt(0)
	s_barrier
	ds_read2_b64 v[0:3], v11 offset0:2 offset1:3
	s_waitcnt lgkmcnt(0)
	v_add_u32_e32 v8, v1, v0
	v_add3_u32 v3, v8, v2, v3
	s_nop 1
	v_mov_b32_dpp v8, v3 row_shr:1 row_mask:0xf bank_mask:0xf
	v_cndmask_b32_e64 v8, v8, 0, s[24:25]
	v_add_u32_e32 v3, v8, v3
	s_nop 1
	v_mov_b32_dpp v8, v3 row_shr:2 row_mask:0xf bank_mask:0xf
	v_cndmask_b32_e64 v8, 0, v8, s[22:23]
	v_add_u32_e32 v3, v3, v8
	;; [unrolled: 4-line block ×4, first 2 shown]
	s_nop 1
	v_mov_b32_dpp v8, v3 row_bcast:15 row_mask:0xf bank_mask:0xf
	v_cndmask_b32_e64 v8, v8, 0, s[16:17]
	v_add_u32_e32 v3, v3, v8
	s_nop 1
	v_mov_b32_dpp v8, v3 row_bcast:31 row_mask:0xf bank_mask:0xf
	v_cndmask_b32_e64 v8, 0, v8, s[12:13]
	v_add_u32_e32 v3, v3, v8
	s_and_saveexec_b64 s[26:27], s[14:15]
	s_cbranch_execz .LBB51_28
; %bb.27:
	ds_write_b32 v14, v3
.LBB51_28:
	s_or_b64 exec, exec, s[26:27]
	s_waitcnt lgkmcnt(0)
	s_barrier
	s_and_saveexec_b64 s[26:27], s[6:7]
	s_cbranch_execz .LBB51_30
; %bb.29:
	ds_read_b32 v8, v10
	s_waitcnt lgkmcnt(0)
	s_nop 0
	v_mov_b32_dpp v20, v8 row_shr:1 row_mask:0xf bank_mask:0xf
	v_cndmask_b32_e64 v20, v20, 0, s[10:11]
	v_add_u32_e32 v8, v20, v8
	s_nop 1
	v_mov_b32_dpp v20, v8 row_shr:2 row_mask:0xf bank_mask:0xf
	v_cndmask_b32_e64 v20, 0, v20, s[8:9]
	v_add_u32_e32 v8, v8, v20
	ds_write_b32 v10, v8
.LBB51_30:
	s_or_b64 exec, exec, s[26:27]
	v_mov_b32_e32 v8, 0
	v_mov_b32_e32 v20, 0
	s_waitcnt lgkmcnt(0)
	s_barrier
	s_and_saveexec_b64 s[26:27], s[4:5]
	s_cbranch_execz .LBB51_32
; %bb.31:
	ds_read_b32 v20, v13
.LBB51_32:
	s_or_b64 exec, exec, s[26:27]
	s_waitcnt lgkmcnt(0)
	v_add_u32_e32 v3, v20, v3
	ds_bpermute_b32 v3, v12, v3
	s_mov_b32 s26, 0
	s_mov_b32 s27, s26
	s_mov_b32 s28, s26
	s_mov_b32 s29, s26
	s_waitcnt lgkmcnt(0)
	v_cndmask_b32_e64 v3, v3, v20, s[0:1]
	v_cndmask_b32_e64 v20, v3, 0, s[2:3]
	v_add_u32_e32 v21, v20, v0
	v_add_u32_e32 v0, v21, v1
	;; [unrolled: 1-line block ×3, first 2 shown]
	ds_write2_b64 v11, v[20:21], v[0:1] offset0:2 offset1:3
	s_waitcnt lgkmcnt(0)
	s_barrier
	ds_read_b32 v0, v17 offset:16
	v_lshlrev_b32_e32 v1, 2, v9
	s_waitcnt lgkmcnt(0)
	s_barrier
	v_lshl_add_u32 v0, v0, 2, v1
	ds_write_b32 v0, v18
	s_waitcnt lgkmcnt(0)
	s_barrier
	ds_read_b32 v17, v16
	s_waitcnt lgkmcnt(0)
	s_barrier
	ds_write_b32 v0, v19
	v_pk_mov_b32 v[0:1], s[26:27], s[26:27] op_sel:[0,1]
	v_pk_mov_b32 v[2:3], s[28:29], s[28:29] op_sel:[0,1]
	s_waitcnt lgkmcnt(0)
	s_barrier
	ds_read_b32 v18, v16
	s_waitcnt lgkmcnt(0)
	s_barrier
	ds_write2_b64 v11, v[0:1], v[2:3] offset0:2 offset1:3
	v_mov_b32_e32 v0, 2
	v_lshlrev_b32_sdwa v0, v0, v17 dst_sel:DWORD dst_unused:UNUSED_PAD src0_sel:DWORD src1_sel:BYTE_2
	v_add_lshl_u32 v19, v0, v15, 2
	v_bfe_u32 v0, v17, 16, 1
	v_add_co_u32_e32 v1, vcc, -1, v0
	v_addc_co_u32_e64 v2, s[26:27], 0, -1, vcc
	v_cmp_ne_u32_e32 vcc, 0, v0
	v_xor_b32_e32 v0, vcc_hi, v2
	v_mov_b32_e32 v2, 30
	v_lshlrev_b32_sdwa v9, v2, v17 dst_sel:DWORD dst_unused:UNUSED_PAD src0_sel:DWORD src1_sel:WORD_1
	v_not_b32_e32 v2, v9
	v_xor_b32_e32 v1, vcc_lo, v1
	v_cmp_gt_i64_e32 vcc, 0, v[8:9]
	v_ashrrev_i32_e32 v2, 31, v2
	v_and_b32_e32 v1, exec_lo, v1
	v_xor_b32_e32 v3, vcc_hi, v2
	v_xor_b32_e32 v2, vcc_lo, v2
	v_and_b32_e32 v1, v1, v2
	v_mov_b32_e32 v2, 29
	v_lshlrev_b32_sdwa v9, v2, v17 dst_sel:DWORD dst_unused:UNUSED_PAD src0_sel:DWORD src1_sel:WORD_1
	v_not_b32_e32 v2, v9
	v_and_b32_e32 v0, exec_hi, v0
	v_cmp_gt_i64_e32 vcc, 0, v[8:9]
	v_ashrrev_i32_e32 v2, 31, v2
	v_and_b32_e32 v0, v0, v3
	v_xor_b32_e32 v3, vcc_hi, v2
	v_xor_b32_e32 v2, vcc_lo, v2
	v_and_b32_e32 v1, v1, v2
	v_mov_b32_e32 v2, 28
	v_lshlrev_b32_sdwa v9, v2, v17 dst_sel:DWORD dst_unused:UNUSED_PAD src0_sel:DWORD src1_sel:WORD_1
	v_not_b32_e32 v2, v9
	v_cmp_gt_i64_e32 vcc, 0, v[8:9]
	v_ashrrev_i32_e32 v2, 31, v2
	v_and_b32_e32 v0, v0, v3
	v_xor_b32_e32 v3, vcc_hi, v2
	v_xor_b32_e32 v2, vcc_lo, v2
	v_and_b32_e32 v1, v1, v2
	v_mov_b32_e32 v2, 27
	v_lshlrev_b32_sdwa v9, v2, v17 dst_sel:DWORD dst_unused:UNUSED_PAD src0_sel:DWORD src1_sel:WORD_1
	v_not_b32_e32 v2, v9
	;; [unrolled: 9-line block ×5, first 2 shown]
	v_cmp_gt_i64_e32 vcc, 0, v[8:9]
	v_ashrrev_i32_e32 v1, 31, v1
	v_and_b32_e32 v0, v0, v3
	v_xor_b32_e32 v3, vcc_hi, v1
	v_xor_b32_e32 v8, vcc_lo, v1
	v_and_b32_e32 v1, v0, v3
	v_and_b32_e32 v0, v2, v8
	v_mbcnt_lo_u32_b32 v2, v0, 0
	v_mbcnt_hi_u32_b32 v9, v1, v2
	v_cmp_eq_u32_e32 vcc, 0, v9
	v_cmp_ne_u64_e64 s[26:27], 0, v[0:1]
	s_and_b64 s[28:29], s[26:27], vcc
	s_waitcnt lgkmcnt(0)
	s_barrier
	s_waitcnt lgkmcnt(0)
	; wave barrier
	s_and_saveexec_b64 s[26:27], s[28:29]
	s_cbranch_execz .LBB51_34
; %bb.33:
	v_bcnt_u32_b32 v0, v0, 0
	v_bcnt_u32_b32 v0, v1, v0
	ds_write_b32 v19, v0 offset:16
.LBB51_34:
	s_or_b64 exec, exec, s[26:27]
	; wave barrier
	s_waitcnt lgkmcnt(0)
	s_barrier
	ds_read2_b64 v[0:3], v11 offset0:2 offset1:3
	s_waitcnt lgkmcnt(0)
	v_add_u32_e32 v8, v1, v0
	v_add3_u32 v3, v8, v2, v3
	s_nop 1
	v_mov_b32_dpp v8, v3 row_shr:1 row_mask:0xf bank_mask:0xf
	v_cndmask_b32_e64 v8, v8, 0, s[24:25]
	v_add_u32_e32 v3, v8, v3
	s_nop 1
	v_mov_b32_dpp v8, v3 row_shr:2 row_mask:0xf bank_mask:0xf
	v_cndmask_b32_e64 v8, 0, v8, s[22:23]
	v_add_u32_e32 v3, v3, v8
	;; [unrolled: 4-line block ×4, first 2 shown]
	s_nop 1
	v_mov_b32_dpp v8, v3 row_bcast:15 row_mask:0xf bank_mask:0xf
	v_cndmask_b32_e64 v8, v8, 0, s[16:17]
	v_add_u32_e32 v3, v3, v8
	s_nop 1
	v_mov_b32_dpp v8, v3 row_bcast:31 row_mask:0xf bank_mask:0xf
	v_cndmask_b32_e64 v8, 0, v8, s[12:13]
	v_add_u32_e32 v3, v3, v8
	s_and_saveexec_b64 s[26:27], s[14:15]
	s_cbranch_execz .LBB51_36
; %bb.35:
	ds_write_b32 v14, v3
.LBB51_36:
	s_or_b64 exec, exec, s[26:27]
	s_waitcnt lgkmcnt(0)
	s_barrier
	s_and_saveexec_b64 s[26:27], s[6:7]
	s_cbranch_execz .LBB51_38
; %bb.37:
	ds_read_b32 v8, v10
	s_waitcnt lgkmcnt(0)
	s_nop 0
	v_mov_b32_dpp v20, v8 row_shr:1 row_mask:0xf bank_mask:0xf
	v_cndmask_b32_e64 v20, v20, 0, s[10:11]
	v_add_u32_e32 v8, v20, v8
	s_nop 1
	v_mov_b32_dpp v20, v8 row_shr:2 row_mask:0xf bank_mask:0xf
	v_cndmask_b32_e64 v20, 0, v20, s[8:9]
	v_add_u32_e32 v8, v8, v20
	ds_write_b32 v10, v8
.LBB51_38:
	s_or_b64 exec, exec, s[26:27]
	v_mov_b32_e32 v8, 0
	v_mov_b32_e32 v20, 0
	s_waitcnt lgkmcnt(0)
	s_barrier
	s_and_saveexec_b64 s[26:27], s[4:5]
	s_cbranch_execz .LBB51_40
; %bb.39:
	ds_read_b32 v20, v13
.LBB51_40:
	s_or_b64 exec, exec, s[26:27]
	s_waitcnt lgkmcnt(0)
	v_add_u32_e32 v3, v20, v3
	ds_bpermute_b32 v3, v12, v3
	s_mov_b32 s26, 0
	s_mov_b32 s27, s26
	;; [unrolled: 1-line block ×4, first 2 shown]
	s_waitcnt lgkmcnt(0)
	v_cndmask_b32_e64 v3, v3, v20, s[0:1]
	v_cndmask_b32_e64 v20, v3, 0, s[2:3]
	v_add_u32_e32 v21, v20, v0
	v_add_u32_e32 v0, v21, v1
	;; [unrolled: 1-line block ×3, first 2 shown]
	ds_write2_b64 v11, v[20:21], v[0:1] offset0:2 offset1:3
	s_waitcnt lgkmcnt(0)
	s_barrier
	ds_read_b32 v0, v19 offset:16
	v_lshlrev_b32_e32 v1, 2, v9
	s_waitcnt lgkmcnt(0)
	s_barrier
	v_lshl_add_u32 v0, v0, 2, v1
	ds_write_b32 v0, v17
	s_waitcnt lgkmcnt(0)
	s_barrier
	ds_read_b32 v17, v16
	s_waitcnt lgkmcnt(0)
	s_barrier
	ds_write_b32 v0, v18
	v_pk_mov_b32 v[0:1], s[26:27], s[26:27] op_sel:[0,1]
	v_pk_mov_b32 v[2:3], s[28:29], s[28:29] op_sel:[0,1]
	s_waitcnt lgkmcnt(0)
	s_barrier
	ds_read_b32 v16, v16
	s_waitcnt lgkmcnt(0)
	s_barrier
	ds_write2_b64 v11, v[0:1], v[2:3] offset0:2 offset1:3
	v_mov_b32_e32 v0, 2
	v_lshlrev_b32_sdwa v0, v0, v17 dst_sel:DWORD dst_unused:UNUSED_PAD src0_sel:DWORD src1_sel:BYTE_3
	v_add_lshl_u32 v15, v0, v15, 2
	v_bfe_u32 v0, v17, 24, 1
	v_add_co_u32_e32 v1, vcc, -1, v0
	v_addc_co_u32_e64 v2, s[26:27], 0, -1, vcc
	v_cmp_ne_u32_e32 vcc, 0, v0
	v_xor_b32_e32 v0, vcc_hi, v2
	v_mov_b32_e32 v2, 30
	v_lshlrev_b32_sdwa v9, v2, v17 dst_sel:DWORD dst_unused:UNUSED_PAD src0_sel:DWORD src1_sel:BYTE_3
	v_not_b32_e32 v2, v9
	v_xor_b32_e32 v1, vcc_lo, v1
	v_cmp_gt_i64_e32 vcc, 0, v[8:9]
	v_ashrrev_i32_e32 v2, 31, v2
	v_and_b32_e32 v1, exec_lo, v1
	v_xor_b32_e32 v3, vcc_hi, v2
	v_xor_b32_e32 v2, vcc_lo, v2
	v_and_b32_e32 v1, v1, v2
	v_mov_b32_e32 v2, 29
	v_lshlrev_b32_sdwa v9, v2, v17 dst_sel:DWORD dst_unused:UNUSED_PAD src0_sel:DWORD src1_sel:BYTE_3
	v_not_b32_e32 v2, v9
	v_and_b32_e32 v0, exec_hi, v0
	v_cmp_gt_i64_e32 vcc, 0, v[8:9]
	v_ashrrev_i32_e32 v2, 31, v2
	v_and_b32_e32 v0, v0, v3
	v_xor_b32_e32 v3, vcc_hi, v2
	v_xor_b32_e32 v2, vcc_lo, v2
	v_and_b32_e32 v1, v1, v2
	v_mov_b32_e32 v2, 28
	v_lshlrev_b32_sdwa v9, v2, v17 dst_sel:DWORD dst_unused:UNUSED_PAD src0_sel:DWORD src1_sel:BYTE_3
	v_not_b32_e32 v2, v9
	v_cmp_gt_i64_e32 vcc, 0, v[8:9]
	v_ashrrev_i32_e32 v2, 31, v2
	v_and_b32_e32 v0, v0, v3
	v_xor_b32_e32 v3, vcc_hi, v2
	v_xor_b32_e32 v2, vcc_lo, v2
	v_and_b32_e32 v1, v1, v2
	v_mov_b32_e32 v2, 27
	v_lshlrev_b32_sdwa v9, v2, v17 dst_sel:DWORD dst_unused:UNUSED_PAD src0_sel:DWORD src1_sel:BYTE_3
	v_not_b32_e32 v2, v9
	;; [unrolled: 9-line block ×4, first 2 shown]
	v_cmp_gt_i64_e32 vcc, 0, v[8:9]
	v_ashrrev_i32_e32 v2, 31, v2
	v_and_b32_e32 v0, v0, v3
	v_xor_b32_e32 v3, vcc_hi, v2
	v_xor_b32_e32 v2, vcc_lo, v2
	v_and_b32_e32 v9, 0xff000000, v17
	v_and_b32_e32 v2, v1, v2
	v_not_b32_e32 v1, v9
	v_cmp_gt_i64_e32 vcc, 0, v[8:9]
	v_ashrrev_i32_e32 v1, 31, v1
	v_and_b32_e32 v0, v0, v3
	v_xor_b32_e32 v3, vcc_hi, v1
	v_xor_b32_e32 v8, vcc_lo, v1
	v_and_b32_e32 v1, v0, v3
	v_and_b32_e32 v0, v2, v8
	v_mbcnt_lo_u32_b32 v2, v0, 0
	v_mbcnt_hi_u32_b32 v8, v1, v2
	v_cmp_eq_u32_e32 vcc, 0, v8
	v_cmp_ne_u64_e64 s[26:27], 0, v[0:1]
	s_and_b64 s[28:29], s[26:27], vcc
	s_waitcnt lgkmcnt(0)
	s_barrier
	s_waitcnt lgkmcnt(0)
	; wave barrier
	s_and_saveexec_b64 s[26:27], s[28:29]
	s_cbranch_execz .LBB51_42
; %bb.41:
	v_bcnt_u32_b32 v0, v0, 0
	v_bcnt_u32_b32 v0, v1, v0
	ds_write_b32 v15, v0 offset:16
.LBB51_42:
	s_or_b64 exec, exec, s[26:27]
	; wave barrier
	s_waitcnt lgkmcnt(0)
	s_barrier
	ds_read2_b64 v[0:3], v11 offset0:2 offset1:3
	s_waitcnt lgkmcnt(0)
	v_add_u32_e32 v9, v1, v0
	v_add3_u32 v3, v9, v2, v3
	s_nop 1
	v_mov_b32_dpp v9, v3 row_shr:1 row_mask:0xf bank_mask:0xf
	v_cndmask_b32_e64 v9, v9, 0, s[24:25]
	v_add_u32_e32 v3, v9, v3
	s_nop 1
	v_mov_b32_dpp v9, v3 row_shr:2 row_mask:0xf bank_mask:0xf
	v_cndmask_b32_e64 v9, 0, v9, s[22:23]
	v_add_u32_e32 v3, v3, v9
	;; [unrolled: 4-line block ×4, first 2 shown]
	s_nop 1
	v_mov_b32_dpp v9, v3 row_bcast:15 row_mask:0xf bank_mask:0xf
	v_cndmask_b32_e64 v9, v9, 0, s[16:17]
	v_add_u32_e32 v3, v3, v9
	s_nop 1
	v_mov_b32_dpp v9, v3 row_bcast:31 row_mask:0xf bank_mask:0xf
	v_cndmask_b32_e64 v9, 0, v9, s[12:13]
	v_add_u32_e32 v3, v3, v9
	s_and_saveexec_b64 s[12:13], s[14:15]
	s_cbranch_execz .LBB51_44
; %bb.43:
	ds_write_b32 v14, v3
.LBB51_44:
	s_or_b64 exec, exec, s[12:13]
	s_waitcnt lgkmcnt(0)
	s_barrier
	s_and_saveexec_b64 s[12:13], s[6:7]
	s_cbranch_execz .LBB51_46
; %bb.45:
	ds_read_b32 v9, v10
	s_waitcnt lgkmcnt(0)
	s_nop 0
	v_mov_b32_dpp v14, v9 row_shr:1 row_mask:0xf bank_mask:0xf
	v_cndmask_b32_e64 v14, v14, 0, s[10:11]
	v_add_u32_e32 v9, v14, v9
	s_nop 1
	v_mov_b32_dpp v14, v9 row_shr:2 row_mask:0xf bank_mask:0xf
	v_cndmask_b32_e64 v14, 0, v14, s[8:9]
	v_add_u32_e32 v9, v9, v14
	ds_write_b32 v10, v9
.LBB51_46:
	s_or_b64 exec, exec, s[12:13]
	v_mov_b32_e32 v9, 0
	s_waitcnt lgkmcnt(0)
	s_barrier
	s_and_saveexec_b64 s[6:7], s[4:5]
	s_cbranch_execz .LBB51_48
; %bb.47:
	ds_read_b32 v9, v13
.LBB51_48:
	s_or_b64 exec, exec, s[6:7]
	s_waitcnt lgkmcnt(0)
	v_add_u32_e32 v3, v9, v3
	ds_bpermute_b32 v3, v12, v3
	s_waitcnt lgkmcnt(0)
	v_cndmask_b32_e64 v3, v3, v9, s[0:1]
	v_cndmask_b32_e64 v12, v3, 0, s[2:3]
	v_add_u32_e32 v13, v12, v0
	v_add_u32_e32 v0, v13, v1
	;; [unrolled: 1-line block ×3, first 2 shown]
	ds_write2_b64 v11, v[12:13], v[0:1] offset0:2 offset1:3
	s_waitcnt lgkmcnt(0)
	s_barrier
	ds_read_b32 v0, v15 offset:16
	v_lshlrev_b32_e32 v1, 2, v8
	s_waitcnt lgkmcnt(0)
	s_barrier
	v_lshl_add_u32 v0, v0, 2, v1
	ds_write_b32 v0, v17
	s_waitcnt lgkmcnt(0)
	s_barrier
	ds_read_b32 v1, v10
	s_waitcnt lgkmcnt(0)
	s_barrier
	ds_write_b32 v0, v16
	s_waitcnt lgkmcnt(0)
	s_barrier
.LBB51_49:
	ds_read_b32 v0, v10
	global_store_dword v[4:5], v1, off
	s_waitcnt lgkmcnt(0)
	global_store_dword v[6:7], v0, off
	s_endpgm
	.section	.rodata,"a",@progbits
	.p2align	6, 0x0
	.amdhsa_kernel _Z21sort_key_value_kernelILj256ELj1ELb0ELb0EjiEvPT3_PT4_jj
		.amdhsa_group_segment_fixed_size 4112
		.amdhsa_private_segment_fixed_size 0
		.amdhsa_kernarg_size 280
		.amdhsa_user_sgpr_count 6
		.amdhsa_user_sgpr_private_segment_buffer 1
		.amdhsa_user_sgpr_dispatch_ptr 0
		.amdhsa_user_sgpr_queue_ptr 0
		.amdhsa_user_sgpr_kernarg_segment_ptr 1
		.amdhsa_user_sgpr_dispatch_id 0
		.amdhsa_user_sgpr_flat_scratch_init 0
		.amdhsa_user_sgpr_kernarg_preload_length 0
		.amdhsa_user_sgpr_kernarg_preload_offset 0
		.amdhsa_user_sgpr_private_segment_size 0
		.amdhsa_uses_dynamic_stack 0
		.amdhsa_system_sgpr_private_segment_wavefront_offset 0
		.amdhsa_system_sgpr_workgroup_id_x 1
		.amdhsa_system_sgpr_workgroup_id_y 0
		.amdhsa_system_sgpr_workgroup_id_z 0
		.amdhsa_system_sgpr_workgroup_info 0
		.amdhsa_system_vgpr_workitem_id 2
		.amdhsa_next_free_vgpr 28
		.amdhsa_next_free_sgpr 38
		.amdhsa_accum_offset 28
		.amdhsa_reserve_vcc 1
		.amdhsa_reserve_flat_scratch 0
		.amdhsa_float_round_mode_32 0
		.amdhsa_float_round_mode_16_64 0
		.amdhsa_float_denorm_mode_32 3
		.amdhsa_float_denorm_mode_16_64 3
		.amdhsa_dx10_clamp 1
		.amdhsa_ieee_mode 1
		.amdhsa_fp16_overflow 0
		.amdhsa_tg_split 0
		.amdhsa_exception_fp_ieee_invalid_op 0
		.amdhsa_exception_fp_denorm_src 0
		.amdhsa_exception_fp_ieee_div_zero 0
		.amdhsa_exception_fp_ieee_overflow 0
		.amdhsa_exception_fp_ieee_underflow 0
		.amdhsa_exception_fp_ieee_inexact 0
		.amdhsa_exception_int_div_zero 0
	.end_amdhsa_kernel
	.section	.text._Z21sort_key_value_kernelILj256ELj1ELb0ELb0EjiEvPT3_PT4_jj,"axG",@progbits,_Z21sort_key_value_kernelILj256ELj1ELb0ELb0EjiEvPT3_PT4_jj,comdat
.Lfunc_end51:
	.size	_Z21sort_key_value_kernelILj256ELj1ELb0ELb0EjiEvPT3_PT4_jj, .Lfunc_end51-_Z21sort_key_value_kernelILj256ELj1ELb0ELb0EjiEvPT3_PT4_jj
                                        ; -- End function
	.section	.AMDGPU.csdata,"",@progbits
; Kernel info:
; codeLenInByte = 5040
; NumSgprs: 42
; NumVgprs: 28
; NumAgprs: 0
; TotalNumVgprs: 28
; ScratchSize: 0
; MemoryBound: 0
; FloatMode: 240
; IeeeMode: 1
; LDSByteSize: 4112 bytes/workgroup (compile time only)
; SGPRBlocks: 5
; VGPRBlocks: 3
; NumSGPRsForWavesPerEU: 42
; NumVGPRsForWavesPerEU: 28
; AccumOffset: 28
; Occupancy: 8
; WaveLimiterHint : 0
; COMPUTE_PGM_RSRC2:SCRATCH_EN: 0
; COMPUTE_PGM_RSRC2:USER_SGPR: 6
; COMPUTE_PGM_RSRC2:TRAP_HANDLER: 0
; COMPUTE_PGM_RSRC2:TGID_X_EN: 1
; COMPUTE_PGM_RSRC2:TGID_Y_EN: 0
; COMPUTE_PGM_RSRC2:TGID_Z_EN: 0
; COMPUTE_PGM_RSRC2:TIDIG_COMP_CNT: 2
; COMPUTE_PGM_RSRC3_GFX90A:ACCUM_OFFSET: 6
; COMPUTE_PGM_RSRC3_GFX90A:TG_SPLIT: 0
	.section	.text._Z21sort_key_value_kernelILj128ELj1ELb0ELb0EiiEvPT3_PT4_jj,"axG",@progbits,_Z21sort_key_value_kernelILj128ELj1ELb0ELb0EiiEvPT3_PT4_jj,comdat
	.protected	_Z21sort_key_value_kernelILj128ELj1ELb0ELb0EiiEvPT3_PT4_jj ; -- Begin function _Z21sort_key_value_kernelILj128ELj1ELb0ELb0EiiEvPT3_PT4_jj
	.globl	_Z21sort_key_value_kernelILj128ELj1ELb0ELb0EiiEvPT3_PT4_jj
	.p2align	8
	.type	_Z21sort_key_value_kernelILj128ELj1ELb0ELb0EiiEvPT3_PT4_jj,@function
_Z21sort_key_value_kernelILj128ELj1ELb0ELb0EiiEvPT3_PT4_jj: ; @_Z21sort_key_value_kernelILj128ELj1ELb0ELb0EiiEvPT3_PT4_jj
; %bb.0:
	s_load_dwordx4 s[0:3], s[4:5], 0x0
	s_load_dwordx2 s[30:31], s[4:5], 0x10
	s_lshl_b32 s24, s6, 7
	s_mov_b32 s25, 0
	s_lshl_b64 s[6:7], s[24:25], 2
	s_waitcnt lgkmcnt(0)
	s_add_u32 s26, s0, s6
	s_addc_u32 s27, s1, s7
	v_and_b32_e32 v2, 0x3ff, v0
	v_lshlrev_b32_e32 v20, 2, v2
	s_add_u32 s28, s2, s6
	global_load_dword v19, v20, s[26:27]
	s_addc_u32 s29, s3, s7
	global_load_dword v17, v20, s[28:29]
	s_load_dword s24, s[4:5], 0x24
	v_mbcnt_lo_u32_b32 v1, -1, 0
	s_cmp_eq_u32 s30, 0
	v_mbcnt_hi_u32_b32 v1, -1, v1
	s_cselect_b64 s[34:35], -1, 0
	s_cmp_eq_u32 s31, 32
	v_bfe_u32 v3, v0, 10, 10
	v_bfe_u32 v0, v0, 20, 10
	v_add_u32_e32 v7, -1, v1
	v_and_b32_e32 v8, 64, v1
	v_mov_b32_e32 v22, s27
	s_cselect_b64 s[36:37], -1, 0
	s_waitcnt lgkmcnt(0)
	s_lshr_b32 s27, s24, 16
	v_and_b32_e32 v4, 15, v1
	v_and_b32_e32 v5, 16, v1
	;; [unrolled: 1-line block ×3, first 2 shown]
	v_lshrrev_b32_e32 v9, 4, v2
	v_cmp_lt_i32_e32 vcc, v7, v8
	s_and_b32 s24, s24, 0xffff
	v_mad_u32_u24 v0, v0, s27, v3
	v_lshlrev_b32_e32 v10, 4, v2
	v_cmp_lt_u32_e64 s[8:9], 31, v1
	v_cmp_eq_u32_e64 s[0:1], 0, v1
	v_mul_i32_i24_e32 v11, -12, v2
	v_and_b32_e32 v12, 1, v1
	v_cmp_eq_u32_e64 s[22:23], 0, v4
	v_cmp_lt_u32_e64 s[20:21], 1, v4
	v_cmp_lt_u32_e64 s[16:17], 3, v4
	;; [unrolled: 1-line block ×3, first 2 shown]
	v_cmp_eq_u32_e64 s[12:13], 0, v5
	v_or_b32_e32 v4, 63, v6
	v_cndmask_b32_e32 v5, v7, v1, vcc
	v_and_b32_e32 v14, 4, v9
	v_add_lshl_u32 v15, v1, v6, 2
	s_and_b64 s[34:35], s[34:35], s[36:37]
	v_mad_u64_u32 v[0:1], s[36:37], v0, s24, v[2:3]
	v_cmp_gt_u32_e64 s[6:7], 2, v2
	v_cmp_lt_u32_e64 s[4:5], 63, v2
	v_cmp_eq_u32_e64 s[2:3], 0, v2
	v_cmp_eq_u32_e64 s[10:11], 0, v12
	v_add_u32_e32 v11, v10, v11
	v_cmp_eq_u32_e64 s[18:19], v4, v2
	v_lshlrev_b32_e32 v12, 2, v5
	v_add_u32_e32 v13, -4, v14
	v_mov_b32_e32 v21, s29
	s_and_b64 vcc, exec, s[34:35]
	v_lshrrev_b32_e32 v16, 6, v0
	s_waitcnt vmcnt(1)
	v_xor_b32_e32 v18, 0x80000000, v19
	s_cbranch_vccnz .LBB52_14
; %bb.1:
	s_mov_b32 s24, s25
	s_mov_b32 s34, s25
	;; [unrolled: 1-line block ×3, first 2 shown]
	s_sub_i32 s27, s31, s30
	v_pk_mov_b32 v[4:5], s[24:25], s[24:25] op_sel:[0,1]
	v_pk_mov_b32 v[6:7], s[34:35], s[34:35] op_sel:[0,1]
	v_mov_b32_e32 v8, 0
	s_waitcnt vmcnt(0)
	v_mov_b32_e32 v2, v17
	v_mov_b32_e32 v1, v18
	s_branch .LBB52_3
.LBB52_2:                               ;   in Loop: Header=BB52_3 Depth=1
	s_barrier
	ds_write_b32 v0, v24
	s_waitcnt lgkmcnt(0)
	s_barrier
	ds_read_b32 v1, v15
	s_waitcnt lgkmcnt(0)
	s_barrier
	ds_write_b32 v0, v23
	s_waitcnt lgkmcnt(0)
	s_barrier
	ds_read_b32 v2, v15
	s_add_i32 s27, s27, -8
	s_waitcnt lgkmcnt(0)
	s_barrier
	s_cbranch_execz .LBB52_13
.LBB52_3:                               ; =>This Inner Loop Header: Depth=1
	v_mov_b32_e32 v24, v1
	s_min_u32 s24, s27, 8
	v_lshrrev_b32_e32 v0, s30, v24
	v_bfe_u32 v0, v0, 0, s24
	v_lshl_add_u32 v1, v0, 1, v16
	v_lshl_add_u32 v25, v1, 2, 8
	v_and_b32_e32 v1, 1, v0
	v_mov_b32_e32 v23, v2
	v_add_co_u32_e32 v2, vcc, -1, v1
	v_addc_co_u32_e64 v3, s[24:25], 0, -1, vcc
	v_cmp_ne_u32_e32 vcc, 0, v1
	v_lshlrev_b32_e32 v9, 30, v0
	v_xor_b32_e32 v1, vcc_hi, v3
	v_not_b32_e32 v3, v9
	v_xor_b32_e32 v2, vcc_lo, v2
	v_cmp_gt_i64_e32 vcc, 0, v[8:9]
	v_ashrrev_i32_e32 v3, 31, v3
	v_and_b32_e32 v1, exec_hi, v1
	v_xor_b32_e32 v9, vcc_hi, v3
	v_and_b32_e32 v2, exec_lo, v2
	v_xor_b32_e32 v3, vcc_lo, v3
	v_and_b32_e32 v1, v1, v9
	v_lshlrev_b32_e32 v9, 29, v0
	v_and_b32_e32 v2, v2, v3
	v_not_b32_e32 v3, v9
	v_cmp_gt_i64_e32 vcc, 0, v[8:9]
	v_ashrrev_i32_e32 v3, 31, v3
	v_xor_b32_e32 v9, vcc_hi, v3
	v_xor_b32_e32 v3, vcc_lo, v3
	v_and_b32_e32 v1, v1, v9
	v_lshlrev_b32_e32 v9, 28, v0
	v_and_b32_e32 v2, v2, v3
	v_not_b32_e32 v3, v9
	v_cmp_gt_i64_e32 vcc, 0, v[8:9]
	v_ashrrev_i32_e32 v3, 31, v3
	v_xor_b32_e32 v9, vcc_hi, v3
	;; [unrolled: 8-line block ×5, first 2 shown]
	v_and_b32_e32 v1, v1, v9
	v_lshlrev_b32_e32 v9, 24, v0
	v_not_b32_e32 v0, v9
	v_xor_b32_e32 v3, vcc_lo, v3
	v_cmp_gt_i64_e32 vcc, 0, v[8:9]
	v_ashrrev_i32_e32 v0, 31, v0
	v_and_b32_e32 v2, v2, v3
	v_xor_b32_e32 v3, vcc_hi, v0
	v_xor_b32_e32 v0, vcc_lo, v0
	v_and_b32_e32 v0, v2, v0
	v_and_b32_e32 v1, v1, v3
	v_mbcnt_lo_u32_b32 v2, v0, 0
	v_mbcnt_hi_u32_b32 v9, v1, v2
	v_cmp_eq_u32_e32 vcc, 0, v9
	v_cmp_ne_u64_e64 s[24:25], 0, v[0:1]
	s_and_b64 s[34:35], s[24:25], vcc
	ds_write2_b64 v10, v[4:5], v[6:7] offset0:1 offset1:2
	s_waitcnt lgkmcnt(0)
	s_barrier
	s_waitcnt lgkmcnt(0)
	; wave barrier
	s_and_saveexec_b64 s[24:25], s[34:35]
	s_cbranch_execz .LBB52_5
; %bb.4:                                ;   in Loop: Header=BB52_3 Depth=1
	v_bcnt_u32_b32 v0, v0, 0
	v_bcnt_u32_b32 v0, v1, v0
	ds_write_b32 v25, v0
.LBB52_5:                               ;   in Loop: Header=BB52_3 Depth=1
	s_or_b64 exec, exec, s[24:25]
	; wave barrier
	s_waitcnt lgkmcnt(0)
	s_barrier
	ds_read2_b64 v[0:3], v10 offset0:1 offset1:2
	s_waitcnt lgkmcnt(0)
	v_add_u32_e32 v26, v1, v0
	v_add3_u32 v3, v26, v2, v3
	s_nop 1
	v_mov_b32_dpp v26, v3 row_shr:1 row_mask:0xf bank_mask:0xf
	v_cndmask_b32_e64 v26, v26, 0, s[22:23]
	v_add_u32_e32 v3, v26, v3
	s_nop 1
	v_mov_b32_dpp v26, v3 row_shr:2 row_mask:0xf bank_mask:0xf
	v_cndmask_b32_e64 v26, 0, v26, s[20:21]
	v_add_u32_e32 v3, v3, v26
	;; [unrolled: 4-line block ×4, first 2 shown]
	s_nop 1
	v_mov_b32_dpp v26, v3 row_bcast:15 row_mask:0xf bank_mask:0xf
	v_cndmask_b32_e64 v26, v26, 0, s[12:13]
	v_add_u32_e32 v3, v3, v26
	s_nop 1
	v_mov_b32_dpp v26, v3 row_bcast:31 row_mask:0xf bank_mask:0xf
	v_cndmask_b32_e64 v26, 0, v26, s[8:9]
	v_add_u32_e32 v3, v3, v26
	s_and_saveexec_b64 s[24:25], s[18:19]
	s_cbranch_execz .LBB52_7
; %bb.6:                                ;   in Loop: Header=BB52_3 Depth=1
	ds_write_b32 v14, v3
.LBB52_7:                               ;   in Loop: Header=BB52_3 Depth=1
	s_or_b64 exec, exec, s[24:25]
	s_waitcnt lgkmcnt(0)
	s_barrier
	s_and_saveexec_b64 s[24:25], s[6:7]
	s_cbranch_execz .LBB52_9
; %bb.8:                                ;   in Loop: Header=BB52_3 Depth=1
	ds_read_b32 v26, v11
	s_waitcnt lgkmcnt(0)
	s_nop 0
	v_mov_b32_dpp v27, v26 row_shr:1 row_mask:0xf bank_mask:0xf
	v_cndmask_b32_e64 v27, v27, 0, s[10:11]
	v_add_u32_e32 v26, v27, v26
	ds_write_b32 v11, v26
.LBB52_9:                               ;   in Loop: Header=BB52_3 Depth=1
	s_or_b64 exec, exec, s[24:25]
	v_mov_b32_e32 v26, 0
	s_waitcnt lgkmcnt(0)
	s_barrier
	s_and_saveexec_b64 s[24:25], s[4:5]
	s_cbranch_execz .LBB52_11
; %bb.10:                               ;   in Loop: Header=BB52_3 Depth=1
	ds_read_b32 v26, v13
.LBB52_11:                              ;   in Loop: Header=BB52_3 Depth=1
	s_or_b64 exec, exec, s[24:25]
	s_waitcnt lgkmcnt(0)
	v_add_u32_e32 v3, v26, v3
	ds_bpermute_b32 v3, v12, v3
	s_add_i32 s30, s30, 8
	s_cmp_ge_u32 s30, s31
	s_waitcnt lgkmcnt(0)
	v_cndmask_b32_e64 v3, v3, v26, s[0:1]
	v_cndmask_b32_e64 v26, v3, 0, s[2:3]
	v_add_u32_e32 v27, v26, v0
	v_add_u32_e32 v0, v27, v1
	;; [unrolled: 1-line block ×3, first 2 shown]
	ds_write2_b64 v10, v[26:27], v[0:1] offset0:1 offset1:2
	s_waitcnt lgkmcnt(0)
	s_barrier
	ds_read_b32 v0, v25
	v_lshlrev_b32_e32 v1, 2, v9
	s_waitcnt lgkmcnt(0)
	v_lshl_add_u32 v0, v0, 2, v1
	s_cbranch_scc0 .LBB52_2
; %bb.12:
                                        ; implicit-def: $vgpr1
                                        ; implicit-def: $vgpr2
                                        ; implicit-def: $sgpr27
.LBB52_13:
	s_barrier
	ds_write_b32 v0, v24
	s_waitcnt lgkmcnt(0)
	s_barrier
	ds_read_b32 v1, v11
	s_mov_b64 s[24:25], 0
	s_waitcnt lgkmcnt(0)
	s_barrier
	ds_write_b32 v0, v23
	s_waitcnt lgkmcnt(0)
	s_barrier
	s_branch .LBB52_15
.LBB52_14:
	s_mov_b64 s[24:25], -1
                                        ; implicit-def: $vgpr1
.LBB52_15:
	v_add_co_u32_e32 v4, vcc, s26, v20
	v_addc_co_u32_e32 v5, vcc, 0, v22, vcc
	v_add_co_u32_e32 v6, vcc, s28, v20
	v_addc_co_u32_e32 v7, vcc, 0, v21, vcc
	s_and_b64 vcc, exec, s[24:25]
	s_cbranch_vccz .LBB52_49
; %bb.16:
	s_mov_b32 s24, 0
	s_mov_b32 s25, s24
	;; [unrolled: 1-line block ×4, first 2 shown]
	v_pk_mov_b32 v[0:1], s[24:25], s[24:25] op_sel:[0,1]
	v_pk_mov_b32 v[2:3], s[26:27], s[26:27] op_sel:[0,1]
	ds_write2_b64 v10, v[0:1], v[2:3] offset0:1 offset1:2
	v_and_b32_e32 v1, 1, v19
	v_add_co_u32_e32 v2, vcc, -1, v1
	v_mov_b32_e32 v0, 1
	v_addc_co_u32_e64 v3, s[24:25], 0, -1, vcc
	v_cmp_ne_u32_e32 vcc, 0, v1
	v_lshlrev_b32_sdwa v0, v0, v19 dst_sel:DWORD dst_unused:UNUSED_PAD src0_sel:DWORD src1_sel:BYTE_0
	v_xor_b32_e32 v1, vcc_hi, v3
	v_add_lshl_u32 v9, v0, v16, 2
	v_mov_b32_e32 v0, 0
	v_and_b32_e32 v3, exec_hi, v1
	v_lshlrev_b32_e32 v1, 30, v19
	v_xor_b32_e32 v2, vcc_lo, v2
	v_cmp_gt_i64_e32 vcc, 0, v[0:1]
	v_not_b32_e32 v1, v1
	v_ashrrev_i32_e32 v1, 31, v1
	v_and_b32_e32 v2, exec_lo, v2
	v_xor_b32_e32 v8, vcc_hi, v1
	v_xor_b32_e32 v1, vcc_lo, v1
	v_and_b32_e32 v2, v2, v1
	v_lshlrev_b32_e32 v1, 29, v19
	v_cmp_gt_i64_e32 vcc, 0, v[0:1]
	v_not_b32_e32 v1, v1
	v_ashrrev_i32_e32 v1, 31, v1
	v_and_b32_e32 v3, v3, v8
	v_xor_b32_e32 v8, vcc_hi, v1
	v_xor_b32_e32 v1, vcc_lo, v1
	v_and_b32_e32 v2, v2, v1
	v_lshlrev_b32_e32 v1, 28, v19
	v_cmp_gt_i64_e32 vcc, 0, v[0:1]
	v_not_b32_e32 v1, v1
	v_ashrrev_i32_e32 v1, 31, v1
	v_and_b32_e32 v3, v3, v8
	;; [unrolled: 8-line block ×5, first 2 shown]
	v_xor_b32_e32 v8, vcc_hi, v1
	v_xor_b32_e32 v1, vcc_lo, v1
	v_and_b32_e32 v2, v2, v1
	v_lshlrev_b32_e32 v1, 24, v19
	v_cmp_gt_i64_e32 vcc, 0, v[0:1]
	v_not_b32_e32 v0, v1
	v_ashrrev_i32_e32 v0, 31, v0
	v_xor_b32_e32 v1, vcc_hi, v0
	v_xor_b32_e32 v0, vcc_lo, v0
	v_and_b32_e32 v3, v3, v8
	v_and_b32_e32 v0, v2, v0
	;; [unrolled: 1-line block ×3, first 2 shown]
	v_mbcnt_lo_u32_b32 v2, v0, 0
	v_mbcnt_hi_u32_b32 v19, v1, v2
	v_cmp_eq_u32_e32 vcc, 0, v19
	v_cmp_ne_u64_e64 s[24:25], 0, v[0:1]
	s_and_b64 s[26:27], s[24:25], vcc
	s_waitcnt lgkmcnt(0)
	s_barrier
	s_waitcnt lgkmcnt(0)
	; wave barrier
	s_and_saveexec_b64 s[24:25], s[26:27]
	s_cbranch_execz .LBB52_18
; %bb.17:
	v_bcnt_u32_b32 v0, v0, 0
	v_bcnt_u32_b32 v0, v1, v0
	ds_write_b32 v9, v0 offset:8
.LBB52_18:
	s_or_b64 exec, exec, s[24:25]
	; wave barrier
	s_waitcnt lgkmcnt(0)
	s_barrier
	ds_read2_b64 v[0:3], v10 offset0:1 offset1:2
	s_waitcnt lgkmcnt(0)
	v_add_u32_e32 v8, v1, v0
	v_add3_u32 v3, v8, v2, v3
	s_nop 1
	v_mov_b32_dpp v8, v3 row_shr:1 row_mask:0xf bank_mask:0xf
	v_cndmask_b32_e64 v8, v8, 0, s[22:23]
	v_add_u32_e32 v3, v8, v3
	s_nop 1
	v_mov_b32_dpp v8, v3 row_shr:2 row_mask:0xf bank_mask:0xf
	v_cndmask_b32_e64 v8, 0, v8, s[20:21]
	v_add_u32_e32 v3, v3, v8
	;; [unrolled: 4-line block ×4, first 2 shown]
	s_nop 1
	v_mov_b32_dpp v8, v3 row_bcast:15 row_mask:0xf bank_mask:0xf
	v_cndmask_b32_e64 v8, v8, 0, s[12:13]
	v_add_u32_e32 v3, v3, v8
	s_nop 1
	v_mov_b32_dpp v8, v3 row_bcast:31 row_mask:0xf bank_mask:0xf
	v_cndmask_b32_e64 v8, 0, v8, s[8:9]
	v_add_u32_e32 v3, v3, v8
	s_and_saveexec_b64 s[24:25], s[18:19]
	s_cbranch_execz .LBB52_20
; %bb.19:
	ds_write_b32 v14, v3
.LBB52_20:
	s_or_b64 exec, exec, s[24:25]
	s_waitcnt lgkmcnt(0)
	s_barrier
	s_and_saveexec_b64 s[24:25], s[6:7]
	s_cbranch_execz .LBB52_22
; %bb.21:
	ds_read_b32 v8, v11
	s_waitcnt lgkmcnt(0)
	s_nop 0
	v_mov_b32_dpp v20, v8 row_shr:1 row_mask:0xf bank_mask:0xf
	v_cndmask_b32_e64 v20, v20, 0, s[10:11]
	v_add_u32_e32 v8, v20, v8
	ds_write_b32 v11, v8
.LBB52_22:
	s_or_b64 exec, exec, s[24:25]
	v_mov_b32_e32 v8, 0
	v_mov_b32_e32 v20, 0
	s_waitcnt lgkmcnt(0)
	s_barrier
	s_and_saveexec_b64 s[24:25], s[4:5]
	s_cbranch_execz .LBB52_24
; %bb.23:
	ds_read_b32 v20, v13
.LBB52_24:
	s_or_b64 exec, exec, s[24:25]
	s_waitcnt lgkmcnt(0)
	v_add_u32_e32 v3, v20, v3
	ds_bpermute_b32 v3, v12, v3
	s_mov_b32 s24, 0
	s_mov_b32 s25, s24
	;; [unrolled: 1-line block ×4, first 2 shown]
	s_waitcnt lgkmcnt(0)
	v_cndmask_b32_e64 v3, v3, v20, s[0:1]
	v_cndmask_b32_e64 v20, v3, 0, s[2:3]
	v_add_u32_e32 v21, v20, v0
	v_add_u32_e32 v0, v21, v1
	;; [unrolled: 1-line block ×3, first 2 shown]
	ds_write2_b64 v10, v[20:21], v[0:1] offset0:1 offset1:2
	s_waitcnt lgkmcnt(0)
	s_barrier
	ds_read_b32 v0, v9 offset:8
	v_lshlrev_b32_e32 v1, 2, v19
	s_waitcnt lgkmcnt(0)
	s_barrier
	v_lshl_add_u32 v0, v0, 2, v1
	ds_write_b32 v0, v18
	s_waitcnt lgkmcnt(0)
	s_barrier
	ds_read_b32 v18, v15
	s_waitcnt lgkmcnt(0)
	s_barrier
	s_waitcnt vmcnt(0)
	ds_write_b32 v0, v17
	v_pk_mov_b32 v[0:1], s[24:25], s[24:25] op_sel:[0,1]
	v_pk_mov_b32 v[2:3], s[26:27], s[26:27] op_sel:[0,1]
	s_waitcnt lgkmcnt(0)
	s_barrier
	ds_read_b32 v19, v15
	s_waitcnt lgkmcnt(0)
	s_barrier
	ds_write2_b64 v10, v[0:1], v[2:3] offset0:1 offset1:2
	v_mov_b32_e32 v1, 1
	v_lshlrev_b32_sdwa v1, v1, v18 dst_sel:DWORD dst_unused:UNUSED_PAD src0_sel:DWORD src1_sel:BYTE_1
	v_add_lshl_u32 v17, v1, v16, 2
	v_bfe_u32 v1, v18, 8, 1
	v_lshrrev_b32_e32 v0, 8, v18
	v_add_co_u32_e32 v2, vcc, -1, v1
	v_addc_co_u32_e64 v3, s[24:25], 0, -1, vcc
	v_cmp_ne_u32_e32 vcc, 0, v1
	v_lshlrev_b32_e32 v9, 30, v0
	v_xor_b32_e32 v1, vcc_hi, v3
	v_not_b32_e32 v3, v9
	v_xor_b32_e32 v2, vcc_lo, v2
	v_cmp_gt_i64_e32 vcc, 0, v[8:9]
	v_ashrrev_i32_e32 v3, 31, v3
	v_and_b32_e32 v1, exec_hi, v1
	v_xor_b32_e32 v9, vcc_hi, v3
	v_and_b32_e32 v2, exec_lo, v2
	v_xor_b32_e32 v3, vcc_lo, v3
	v_and_b32_e32 v1, v1, v9
	v_lshlrev_b32_e32 v9, 29, v0
	v_and_b32_e32 v2, v2, v3
	v_not_b32_e32 v3, v9
	v_cmp_gt_i64_e32 vcc, 0, v[8:9]
	v_ashrrev_i32_e32 v3, 31, v3
	v_xor_b32_e32 v9, vcc_hi, v3
	v_xor_b32_e32 v3, vcc_lo, v3
	v_and_b32_e32 v1, v1, v9
	v_lshlrev_b32_e32 v9, 28, v0
	v_and_b32_e32 v2, v2, v3
	v_not_b32_e32 v3, v9
	v_cmp_gt_i64_e32 vcc, 0, v[8:9]
	v_ashrrev_i32_e32 v3, 31, v3
	v_xor_b32_e32 v9, vcc_hi, v3
	;; [unrolled: 8-line block ×5, first 2 shown]
	v_and_b32_e32 v1, v1, v9
	v_lshlrev_b32_e32 v9, 24, v0
	v_not_b32_e32 v0, v9
	v_xor_b32_e32 v3, vcc_lo, v3
	v_cmp_gt_i64_e32 vcc, 0, v[8:9]
	v_ashrrev_i32_e32 v0, 31, v0
	v_and_b32_e32 v2, v2, v3
	v_xor_b32_e32 v3, vcc_hi, v0
	v_xor_b32_e32 v0, vcc_lo, v0
	v_and_b32_e32 v0, v2, v0
	v_and_b32_e32 v1, v1, v3
	v_mbcnt_lo_u32_b32 v2, v0, 0
	v_mbcnt_hi_u32_b32 v9, v1, v2
	v_cmp_eq_u32_e32 vcc, 0, v9
	v_cmp_ne_u64_e64 s[24:25], 0, v[0:1]
	s_and_b64 s[26:27], s[24:25], vcc
	s_waitcnt lgkmcnt(0)
	s_barrier
	s_waitcnt lgkmcnt(0)
	; wave barrier
	s_and_saveexec_b64 s[24:25], s[26:27]
	s_cbranch_execz .LBB52_26
; %bb.25:
	v_bcnt_u32_b32 v0, v0, 0
	v_bcnt_u32_b32 v0, v1, v0
	ds_write_b32 v17, v0 offset:8
.LBB52_26:
	s_or_b64 exec, exec, s[24:25]
	; wave barrier
	s_waitcnt lgkmcnt(0)
	s_barrier
	ds_read2_b64 v[0:3], v10 offset0:1 offset1:2
	s_waitcnt lgkmcnt(0)
	v_add_u32_e32 v8, v1, v0
	v_add3_u32 v3, v8, v2, v3
	s_nop 1
	v_mov_b32_dpp v8, v3 row_shr:1 row_mask:0xf bank_mask:0xf
	v_cndmask_b32_e64 v8, v8, 0, s[22:23]
	v_add_u32_e32 v3, v8, v3
	s_nop 1
	v_mov_b32_dpp v8, v3 row_shr:2 row_mask:0xf bank_mask:0xf
	v_cndmask_b32_e64 v8, 0, v8, s[20:21]
	v_add_u32_e32 v3, v3, v8
	;; [unrolled: 4-line block ×4, first 2 shown]
	s_nop 1
	v_mov_b32_dpp v8, v3 row_bcast:15 row_mask:0xf bank_mask:0xf
	v_cndmask_b32_e64 v8, v8, 0, s[12:13]
	v_add_u32_e32 v3, v3, v8
	s_nop 1
	v_mov_b32_dpp v8, v3 row_bcast:31 row_mask:0xf bank_mask:0xf
	v_cndmask_b32_e64 v8, 0, v8, s[8:9]
	v_add_u32_e32 v3, v3, v8
	s_and_saveexec_b64 s[24:25], s[18:19]
	s_cbranch_execz .LBB52_28
; %bb.27:
	ds_write_b32 v14, v3
.LBB52_28:
	s_or_b64 exec, exec, s[24:25]
	s_waitcnt lgkmcnt(0)
	s_barrier
	s_and_saveexec_b64 s[24:25], s[6:7]
	s_cbranch_execz .LBB52_30
; %bb.29:
	ds_read_b32 v8, v11
	s_waitcnt lgkmcnt(0)
	s_nop 0
	v_mov_b32_dpp v20, v8 row_shr:1 row_mask:0xf bank_mask:0xf
	v_cndmask_b32_e64 v20, v20, 0, s[10:11]
	v_add_u32_e32 v8, v20, v8
	ds_write_b32 v11, v8
.LBB52_30:
	s_or_b64 exec, exec, s[24:25]
	v_mov_b32_e32 v8, 0
	v_mov_b32_e32 v20, 0
	s_waitcnt lgkmcnt(0)
	s_barrier
	s_and_saveexec_b64 s[24:25], s[4:5]
	s_cbranch_execz .LBB52_32
; %bb.31:
	ds_read_b32 v20, v13
.LBB52_32:
	s_or_b64 exec, exec, s[24:25]
	s_waitcnt lgkmcnt(0)
	v_add_u32_e32 v3, v20, v3
	ds_bpermute_b32 v3, v12, v3
	s_mov_b32 s24, 0
	s_mov_b32 s25, s24
	s_mov_b32 s26, s24
	s_mov_b32 s27, s24
	s_waitcnt lgkmcnt(0)
	v_cndmask_b32_e64 v3, v3, v20, s[0:1]
	v_cndmask_b32_e64 v20, v3, 0, s[2:3]
	v_add_u32_e32 v21, v20, v0
	v_add_u32_e32 v0, v21, v1
	;; [unrolled: 1-line block ×3, first 2 shown]
	ds_write2_b64 v10, v[20:21], v[0:1] offset0:1 offset1:2
	s_waitcnt lgkmcnt(0)
	s_barrier
	ds_read_b32 v0, v17 offset:8
	v_lshlrev_b32_e32 v1, 2, v9
	s_waitcnt lgkmcnt(0)
	s_barrier
	v_lshl_add_u32 v0, v0, 2, v1
	ds_write_b32 v0, v18
	s_waitcnt lgkmcnt(0)
	s_barrier
	ds_read_b32 v17, v15
	s_waitcnt lgkmcnt(0)
	s_barrier
	ds_write_b32 v0, v19
	v_pk_mov_b32 v[0:1], s[24:25], s[24:25] op_sel:[0,1]
	v_pk_mov_b32 v[2:3], s[26:27], s[26:27] op_sel:[0,1]
	s_waitcnt lgkmcnt(0)
	s_barrier
	ds_read_b32 v18, v15
	s_waitcnt lgkmcnt(0)
	s_barrier
	ds_write2_b64 v10, v[0:1], v[2:3] offset0:1 offset1:2
	v_mov_b32_e32 v0, 1
	v_lshlrev_b32_sdwa v0, v0, v17 dst_sel:DWORD dst_unused:UNUSED_PAD src0_sel:DWORD src1_sel:BYTE_2
	v_add_lshl_u32 v19, v0, v16, 2
	v_bfe_u32 v0, v17, 16, 1
	v_add_co_u32_e32 v1, vcc, -1, v0
	v_addc_co_u32_e64 v2, s[24:25], 0, -1, vcc
	v_cmp_ne_u32_e32 vcc, 0, v0
	v_xor_b32_e32 v0, vcc_hi, v2
	v_mov_b32_e32 v2, 30
	v_lshlrev_b32_sdwa v9, v2, v17 dst_sel:DWORD dst_unused:UNUSED_PAD src0_sel:DWORD src1_sel:WORD_1
	v_not_b32_e32 v2, v9
	v_xor_b32_e32 v1, vcc_lo, v1
	v_cmp_gt_i64_e32 vcc, 0, v[8:9]
	v_ashrrev_i32_e32 v2, 31, v2
	v_and_b32_e32 v1, exec_lo, v1
	v_xor_b32_e32 v3, vcc_hi, v2
	v_xor_b32_e32 v2, vcc_lo, v2
	v_and_b32_e32 v1, v1, v2
	v_mov_b32_e32 v2, 29
	v_lshlrev_b32_sdwa v9, v2, v17 dst_sel:DWORD dst_unused:UNUSED_PAD src0_sel:DWORD src1_sel:WORD_1
	v_not_b32_e32 v2, v9
	v_and_b32_e32 v0, exec_hi, v0
	v_cmp_gt_i64_e32 vcc, 0, v[8:9]
	v_ashrrev_i32_e32 v2, 31, v2
	v_and_b32_e32 v0, v0, v3
	v_xor_b32_e32 v3, vcc_hi, v2
	v_xor_b32_e32 v2, vcc_lo, v2
	v_and_b32_e32 v1, v1, v2
	v_mov_b32_e32 v2, 28
	v_lshlrev_b32_sdwa v9, v2, v17 dst_sel:DWORD dst_unused:UNUSED_PAD src0_sel:DWORD src1_sel:WORD_1
	v_not_b32_e32 v2, v9
	v_cmp_gt_i64_e32 vcc, 0, v[8:9]
	v_ashrrev_i32_e32 v2, 31, v2
	v_and_b32_e32 v0, v0, v3
	v_xor_b32_e32 v3, vcc_hi, v2
	v_xor_b32_e32 v2, vcc_lo, v2
	v_and_b32_e32 v1, v1, v2
	v_mov_b32_e32 v2, 27
	v_lshlrev_b32_sdwa v9, v2, v17 dst_sel:DWORD dst_unused:UNUSED_PAD src0_sel:DWORD src1_sel:WORD_1
	v_not_b32_e32 v2, v9
	;; [unrolled: 9-line block ×5, first 2 shown]
	v_cmp_gt_i64_e32 vcc, 0, v[8:9]
	v_ashrrev_i32_e32 v1, 31, v1
	v_and_b32_e32 v0, v0, v3
	v_xor_b32_e32 v3, vcc_hi, v1
	v_xor_b32_e32 v8, vcc_lo, v1
	v_and_b32_e32 v1, v0, v3
	v_and_b32_e32 v0, v2, v8
	v_mbcnt_lo_u32_b32 v2, v0, 0
	v_mbcnt_hi_u32_b32 v9, v1, v2
	v_cmp_eq_u32_e32 vcc, 0, v9
	v_cmp_ne_u64_e64 s[24:25], 0, v[0:1]
	s_and_b64 s[26:27], s[24:25], vcc
	s_waitcnt lgkmcnt(0)
	s_barrier
	s_waitcnt lgkmcnt(0)
	; wave barrier
	s_and_saveexec_b64 s[24:25], s[26:27]
	s_cbranch_execz .LBB52_34
; %bb.33:
	v_bcnt_u32_b32 v0, v0, 0
	v_bcnt_u32_b32 v0, v1, v0
	ds_write_b32 v19, v0 offset:8
.LBB52_34:
	s_or_b64 exec, exec, s[24:25]
	; wave barrier
	s_waitcnt lgkmcnt(0)
	s_barrier
	ds_read2_b64 v[0:3], v10 offset0:1 offset1:2
	s_waitcnt lgkmcnt(0)
	v_add_u32_e32 v8, v1, v0
	v_add3_u32 v3, v8, v2, v3
	s_nop 1
	v_mov_b32_dpp v8, v3 row_shr:1 row_mask:0xf bank_mask:0xf
	v_cndmask_b32_e64 v8, v8, 0, s[22:23]
	v_add_u32_e32 v3, v8, v3
	s_nop 1
	v_mov_b32_dpp v8, v3 row_shr:2 row_mask:0xf bank_mask:0xf
	v_cndmask_b32_e64 v8, 0, v8, s[20:21]
	v_add_u32_e32 v3, v3, v8
	;; [unrolled: 4-line block ×4, first 2 shown]
	s_nop 1
	v_mov_b32_dpp v8, v3 row_bcast:15 row_mask:0xf bank_mask:0xf
	v_cndmask_b32_e64 v8, v8, 0, s[12:13]
	v_add_u32_e32 v3, v3, v8
	s_nop 1
	v_mov_b32_dpp v8, v3 row_bcast:31 row_mask:0xf bank_mask:0xf
	v_cndmask_b32_e64 v8, 0, v8, s[8:9]
	v_add_u32_e32 v3, v3, v8
	s_and_saveexec_b64 s[24:25], s[18:19]
	s_cbranch_execz .LBB52_36
; %bb.35:
	ds_write_b32 v14, v3
.LBB52_36:
	s_or_b64 exec, exec, s[24:25]
	s_waitcnt lgkmcnt(0)
	s_barrier
	s_and_saveexec_b64 s[24:25], s[6:7]
	s_cbranch_execz .LBB52_38
; %bb.37:
	ds_read_b32 v8, v11
	s_waitcnt lgkmcnt(0)
	s_nop 0
	v_mov_b32_dpp v20, v8 row_shr:1 row_mask:0xf bank_mask:0xf
	v_cndmask_b32_e64 v20, v20, 0, s[10:11]
	v_add_u32_e32 v8, v20, v8
	ds_write_b32 v11, v8
.LBB52_38:
	s_or_b64 exec, exec, s[24:25]
	v_mov_b32_e32 v8, 0
	v_mov_b32_e32 v20, 0
	s_waitcnt lgkmcnt(0)
	s_barrier
	s_and_saveexec_b64 s[24:25], s[4:5]
	s_cbranch_execz .LBB52_40
; %bb.39:
	ds_read_b32 v20, v13
.LBB52_40:
	s_or_b64 exec, exec, s[24:25]
	s_waitcnt lgkmcnt(0)
	v_add_u32_e32 v3, v20, v3
	ds_bpermute_b32 v3, v12, v3
	s_mov_b32 s24, 0
	s_mov_b32 s25, s24
	;; [unrolled: 1-line block ×4, first 2 shown]
	s_waitcnt lgkmcnt(0)
	v_cndmask_b32_e64 v3, v3, v20, s[0:1]
	v_cndmask_b32_e64 v20, v3, 0, s[2:3]
	v_add_u32_e32 v21, v20, v0
	v_add_u32_e32 v0, v21, v1
	;; [unrolled: 1-line block ×3, first 2 shown]
	ds_write2_b64 v10, v[20:21], v[0:1] offset0:1 offset1:2
	s_waitcnt lgkmcnt(0)
	s_barrier
	ds_read_b32 v0, v19 offset:8
	v_lshlrev_b32_e32 v1, 2, v9
	s_waitcnt lgkmcnt(0)
	s_barrier
	v_lshl_add_u32 v0, v0, 2, v1
	ds_write_b32 v0, v17
	s_waitcnt lgkmcnt(0)
	s_barrier
	ds_read_b32 v17, v15
	s_waitcnt lgkmcnt(0)
	s_barrier
	ds_write_b32 v0, v18
	v_pk_mov_b32 v[0:1], s[24:25], s[24:25] op_sel:[0,1]
	v_pk_mov_b32 v[2:3], s[26:27], s[26:27] op_sel:[0,1]
	s_waitcnt lgkmcnt(0)
	s_barrier
	ds_read_b32 v15, v15
	s_waitcnt lgkmcnt(0)
	s_barrier
	ds_write2_b64 v10, v[0:1], v[2:3] offset0:1 offset1:2
	v_mov_b32_e32 v0, 1
	v_lshlrev_b32_sdwa v0, v0, v17 dst_sel:DWORD dst_unused:UNUSED_PAD src0_sel:DWORD src1_sel:BYTE_3
	v_add_lshl_u32 v16, v0, v16, 2
	v_bfe_u32 v0, v17, 24, 1
	v_add_co_u32_e32 v1, vcc, -1, v0
	v_addc_co_u32_e64 v2, s[24:25], 0, -1, vcc
	v_cmp_ne_u32_e32 vcc, 0, v0
	v_xor_b32_e32 v0, vcc_hi, v2
	v_mov_b32_e32 v2, 30
	v_lshlrev_b32_sdwa v9, v2, v17 dst_sel:DWORD dst_unused:UNUSED_PAD src0_sel:DWORD src1_sel:BYTE_3
	v_not_b32_e32 v2, v9
	v_xor_b32_e32 v1, vcc_lo, v1
	v_cmp_gt_i64_e32 vcc, 0, v[8:9]
	v_ashrrev_i32_e32 v2, 31, v2
	v_and_b32_e32 v1, exec_lo, v1
	v_xor_b32_e32 v3, vcc_hi, v2
	v_xor_b32_e32 v2, vcc_lo, v2
	v_and_b32_e32 v1, v1, v2
	v_mov_b32_e32 v2, 29
	v_lshlrev_b32_sdwa v9, v2, v17 dst_sel:DWORD dst_unused:UNUSED_PAD src0_sel:DWORD src1_sel:BYTE_3
	v_not_b32_e32 v2, v9
	v_and_b32_e32 v0, exec_hi, v0
	v_cmp_gt_i64_e32 vcc, 0, v[8:9]
	v_ashrrev_i32_e32 v2, 31, v2
	v_and_b32_e32 v0, v0, v3
	v_xor_b32_e32 v3, vcc_hi, v2
	v_xor_b32_e32 v2, vcc_lo, v2
	v_and_b32_e32 v1, v1, v2
	v_mov_b32_e32 v2, 28
	v_lshlrev_b32_sdwa v9, v2, v17 dst_sel:DWORD dst_unused:UNUSED_PAD src0_sel:DWORD src1_sel:BYTE_3
	v_not_b32_e32 v2, v9
	v_cmp_gt_i64_e32 vcc, 0, v[8:9]
	v_ashrrev_i32_e32 v2, 31, v2
	v_and_b32_e32 v0, v0, v3
	v_xor_b32_e32 v3, vcc_hi, v2
	v_xor_b32_e32 v2, vcc_lo, v2
	v_and_b32_e32 v1, v1, v2
	v_mov_b32_e32 v2, 27
	v_lshlrev_b32_sdwa v9, v2, v17 dst_sel:DWORD dst_unused:UNUSED_PAD src0_sel:DWORD src1_sel:BYTE_3
	v_not_b32_e32 v2, v9
	;; [unrolled: 9-line block ×4, first 2 shown]
	v_cmp_gt_i64_e32 vcc, 0, v[8:9]
	v_ashrrev_i32_e32 v2, 31, v2
	v_and_b32_e32 v0, v0, v3
	v_xor_b32_e32 v3, vcc_hi, v2
	v_xor_b32_e32 v2, vcc_lo, v2
	v_and_b32_e32 v9, 0xff000000, v17
	v_and_b32_e32 v2, v1, v2
	v_not_b32_e32 v1, v9
	v_cmp_gt_i64_e32 vcc, 0, v[8:9]
	v_ashrrev_i32_e32 v1, 31, v1
	v_and_b32_e32 v0, v0, v3
	v_xor_b32_e32 v3, vcc_hi, v1
	v_xor_b32_e32 v8, vcc_lo, v1
	v_and_b32_e32 v1, v0, v3
	v_and_b32_e32 v0, v2, v8
	v_mbcnt_lo_u32_b32 v2, v0, 0
	v_mbcnt_hi_u32_b32 v8, v1, v2
	v_cmp_eq_u32_e32 vcc, 0, v8
	v_cmp_ne_u64_e64 s[24:25], 0, v[0:1]
	s_and_b64 s[26:27], s[24:25], vcc
	s_waitcnt lgkmcnt(0)
	s_barrier
	s_waitcnt lgkmcnt(0)
	; wave barrier
	s_and_saveexec_b64 s[24:25], s[26:27]
	s_cbranch_execz .LBB52_42
; %bb.41:
	v_bcnt_u32_b32 v0, v0, 0
	v_bcnt_u32_b32 v0, v1, v0
	ds_write_b32 v16, v0 offset:8
.LBB52_42:
	s_or_b64 exec, exec, s[24:25]
	; wave barrier
	s_waitcnt lgkmcnt(0)
	s_barrier
	ds_read2_b64 v[0:3], v10 offset0:1 offset1:2
	s_waitcnt lgkmcnt(0)
	v_add_u32_e32 v9, v1, v0
	v_add3_u32 v3, v9, v2, v3
	s_nop 1
	v_mov_b32_dpp v9, v3 row_shr:1 row_mask:0xf bank_mask:0xf
	v_cndmask_b32_e64 v9, v9, 0, s[22:23]
	v_add_u32_e32 v3, v9, v3
	s_nop 1
	v_mov_b32_dpp v9, v3 row_shr:2 row_mask:0xf bank_mask:0xf
	v_cndmask_b32_e64 v9, 0, v9, s[20:21]
	v_add_u32_e32 v3, v3, v9
	s_nop 1
	v_mov_b32_dpp v9, v3 row_shr:4 row_mask:0xf bank_mask:0xf
	v_cndmask_b32_e64 v9, 0, v9, s[16:17]
	v_add_u32_e32 v3, v3, v9
	s_nop 1
	v_mov_b32_dpp v9, v3 row_shr:8 row_mask:0xf bank_mask:0xf
	v_cndmask_b32_e64 v9, 0, v9, s[14:15]
	v_add_u32_e32 v3, v3, v9
	s_nop 1
	v_mov_b32_dpp v9, v3 row_bcast:15 row_mask:0xf bank_mask:0xf
	v_cndmask_b32_e64 v9, v9, 0, s[12:13]
	v_add_u32_e32 v3, v3, v9
	s_nop 1
	v_mov_b32_dpp v9, v3 row_bcast:31 row_mask:0xf bank_mask:0xf
	v_cndmask_b32_e64 v9, 0, v9, s[8:9]
	v_add_u32_e32 v3, v3, v9
	s_and_saveexec_b64 s[8:9], s[18:19]
	s_cbranch_execz .LBB52_44
; %bb.43:
	ds_write_b32 v14, v3
.LBB52_44:
	s_or_b64 exec, exec, s[8:9]
	s_waitcnt lgkmcnt(0)
	s_barrier
	s_and_saveexec_b64 s[8:9], s[6:7]
	s_cbranch_execz .LBB52_46
; %bb.45:
	ds_read_b32 v9, v11
	s_waitcnt lgkmcnt(0)
	s_nop 0
	v_mov_b32_dpp v14, v9 row_shr:1 row_mask:0xf bank_mask:0xf
	v_cndmask_b32_e64 v14, v14, 0, s[10:11]
	v_add_u32_e32 v9, v14, v9
	ds_write_b32 v11, v9
.LBB52_46:
	s_or_b64 exec, exec, s[8:9]
	v_mov_b32_e32 v9, 0
	s_waitcnt lgkmcnt(0)
	s_barrier
	s_and_saveexec_b64 s[6:7], s[4:5]
	s_cbranch_execz .LBB52_48
; %bb.47:
	ds_read_b32 v9, v13
.LBB52_48:
	s_or_b64 exec, exec, s[6:7]
	s_waitcnt lgkmcnt(0)
	v_add_u32_e32 v3, v9, v3
	ds_bpermute_b32 v3, v12, v3
	s_waitcnt lgkmcnt(0)
	v_cndmask_b32_e64 v3, v3, v9, s[0:1]
	v_cndmask_b32_e64 v12, v3, 0, s[2:3]
	v_add_u32_e32 v13, v12, v0
	v_add_u32_e32 v0, v13, v1
	;; [unrolled: 1-line block ×3, first 2 shown]
	ds_write2_b64 v10, v[12:13], v[0:1] offset0:1 offset1:2
	s_waitcnt lgkmcnt(0)
	s_barrier
	ds_read_b32 v0, v16 offset:8
	v_lshlrev_b32_e32 v1, 2, v8
	s_waitcnt lgkmcnt(0)
	s_barrier
	v_lshl_add_u32 v0, v0, 2, v1
	ds_write_b32 v0, v17
	s_waitcnt lgkmcnt(0)
	s_barrier
	ds_read_b32 v1, v11
	s_waitcnt lgkmcnt(0)
	s_barrier
	ds_write_b32 v0, v15
	s_waitcnt lgkmcnt(0)
	s_barrier
.LBB52_49:
	ds_read_b32 v0, v11
	v_xor_b32_e32 v1, 0x80000000, v1
	global_store_dword v[4:5], v1, off
	s_waitcnt lgkmcnt(0)
	global_store_dword v[6:7], v0, off
	s_endpgm
	.section	.rodata,"a",@progbits
	.p2align	6, 0x0
	.amdhsa_kernel _Z21sort_key_value_kernelILj128ELj1ELb0ELb0EiiEvPT3_PT4_jj
		.amdhsa_group_segment_fixed_size 2064
		.amdhsa_private_segment_fixed_size 0
		.amdhsa_kernarg_size 280
		.amdhsa_user_sgpr_count 6
		.amdhsa_user_sgpr_private_segment_buffer 1
		.amdhsa_user_sgpr_dispatch_ptr 0
		.amdhsa_user_sgpr_queue_ptr 0
		.amdhsa_user_sgpr_kernarg_segment_ptr 1
		.amdhsa_user_sgpr_dispatch_id 0
		.amdhsa_user_sgpr_flat_scratch_init 0
		.amdhsa_user_sgpr_kernarg_preload_length 0
		.amdhsa_user_sgpr_kernarg_preload_offset 0
		.amdhsa_user_sgpr_private_segment_size 0
		.amdhsa_uses_dynamic_stack 0
		.amdhsa_system_sgpr_private_segment_wavefront_offset 0
		.amdhsa_system_sgpr_workgroup_id_x 1
		.amdhsa_system_sgpr_workgroup_id_y 0
		.amdhsa_system_sgpr_workgroup_id_z 0
		.amdhsa_system_sgpr_workgroup_info 0
		.amdhsa_system_vgpr_workitem_id 2
		.amdhsa_next_free_vgpr 28
		.amdhsa_next_free_sgpr 38
		.amdhsa_accum_offset 28
		.amdhsa_reserve_vcc 1
		.amdhsa_reserve_flat_scratch 0
		.amdhsa_float_round_mode_32 0
		.amdhsa_float_round_mode_16_64 0
		.amdhsa_float_denorm_mode_32 3
		.amdhsa_float_denorm_mode_16_64 3
		.amdhsa_dx10_clamp 1
		.amdhsa_ieee_mode 1
		.amdhsa_fp16_overflow 0
		.amdhsa_tg_split 0
		.amdhsa_exception_fp_ieee_invalid_op 0
		.amdhsa_exception_fp_denorm_src 0
		.amdhsa_exception_fp_ieee_div_zero 0
		.amdhsa_exception_fp_ieee_overflow 0
		.amdhsa_exception_fp_ieee_underflow 0
		.amdhsa_exception_fp_ieee_inexact 0
		.amdhsa_exception_int_div_zero 0
	.end_amdhsa_kernel
	.section	.text._Z21sort_key_value_kernelILj128ELj1ELb0ELb0EiiEvPT3_PT4_jj,"axG",@progbits,_Z21sort_key_value_kernelILj128ELj1ELb0ELb0EiiEvPT3_PT4_jj,comdat
.Lfunc_end52:
	.size	_Z21sort_key_value_kernelILj128ELj1ELb0ELb0EiiEvPT3_PT4_jj, .Lfunc_end52-_Z21sort_key_value_kernelILj128ELj1ELb0ELb0EiiEvPT3_PT4_jj
                                        ; -- End function
	.section	.AMDGPU.csdata,"",@progbits
; Kernel info:
; codeLenInByte = 4924
; NumSgprs: 42
; NumVgprs: 28
; NumAgprs: 0
; TotalNumVgprs: 28
; ScratchSize: 0
; MemoryBound: 0
; FloatMode: 240
; IeeeMode: 1
; LDSByteSize: 2064 bytes/workgroup (compile time only)
; SGPRBlocks: 5
; VGPRBlocks: 3
; NumSGPRsForWavesPerEU: 42
; NumVGPRsForWavesPerEU: 28
; AccumOffset: 28
; Occupancy: 8
; WaveLimiterHint : 0
; COMPUTE_PGM_RSRC2:SCRATCH_EN: 0
; COMPUTE_PGM_RSRC2:USER_SGPR: 6
; COMPUTE_PGM_RSRC2:TRAP_HANDLER: 0
; COMPUTE_PGM_RSRC2:TGID_X_EN: 1
; COMPUTE_PGM_RSRC2:TGID_Y_EN: 0
; COMPUTE_PGM_RSRC2:TGID_Z_EN: 0
; COMPUTE_PGM_RSRC2:TIDIG_COMP_CNT: 2
; COMPUTE_PGM_RSRC3_GFX90A:ACCUM_OFFSET: 6
; COMPUTE_PGM_RSRC3_GFX90A:TG_SPLIT: 0
	.section	.text._Z21sort_key_value_kernelILj64ELj1ELb0ELb0EjiEvPT3_PT4_jj,"axG",@progbits,_Z21sort_key_value_kernelILj64ELj1ELb0ELb0EjiEvPT3_PT4_jj,comdat
	.protected	_Z21sort_key_value_kernelILj64ELj1ELb0ELb0EjiEvPT3_PT4_jj ; -- Begin function _Z21sort_key_value_kernelILj64ELj1ELb0ELb0EjiEvPT3_PT4_jj
	.globl	_Z21sort_key_value_kernelILj64ELj1ELb0ELb0EjiEvPT3_PT4_jj
	.p2align	8
	.type	_Z21sort_key_value_kernelILj64ELj1ELb0ELb0EjiEvPT3_PT4_jj,@function
_Z21sort_key_value_kernelILj64ELj1ELb0ELb0EjiEvPT3_PT4_jj: ; @_Z21sort_key_value_kernelILj64ELj1ELb0ELb0EjiEvPT3_PT4_jj
; %bb.0:
	s_load_dwordx4 s[0:3], s[4:5], 0x0
	s_load_dwordx2 s[22:23], s[4:5], 0x10
	s_lshl_b32 s6, s6, 6
	s_mov_b32 s7, 0
	s_lshl_b64 s[6:7], s[6:7], 2
	s_waitcnt lgkmcnt(0)
	s_add_u32 s18, s0, s6
	v_and_b32_e32 v2, 0x3ff, v0
	s_addc_u32 s19, s1, s7
	v_lshlrev_b32_e32 v8, 2, v2
	s_add_u32 s20, s2, s6
	s_addc_u32 s21, s3, s7
	global_load_dword v15, v8, s[18:19]
	global_load_dword v14, v8, s[20:21]
	s_load_dword s4, s[4:5], 0x24
	s_cmp_eq_u32 s22, 0
	s_cselect_b64 s[0:1], -1, 0
	s_cmp_eq_u32 s23, 32
	s_cselect_b64 s[2:3], -1, 0
	s_and_b64 s[24:25], s[0:1], s[2:3]
	s_waitcnt lgkmcnt(0)
	s_lshr_b32 s0, s4, 16
	v_bfe_u32 v1, v0, 10, 10
	v_bfe_u32 v0, v0, 20, 10
	v_mov_b32_e32 v3, s21
	s_and_b32 s1, s4, 0xffff
	v_mad_u32_u24 v0, v0, s0, v1
	v_mad_u64_u32 v[0:1], s[0:1], v0, s1, v[2:3]
	v_lshrrev_b32_e32 v12, 6, v0
	v_mbcnt_lo_u32_b32 v0, -1, 0
	v_mbcnt_hi_u32_b32 v0, -1, v0
	v_and_b32_e32 v1, 15, v0
	v_cmp_eq_u32_e64 s[12:13], 0, v1
	v_cmp_lt_u32_e64 s[10:11], 1, v1
	v_cmp_lt_u32_e64 s[8:9], 3, v1
	;; [unrolled: 1-line block ×3, first 2 shown]
	v_and_b32_e32 v1, 16, v0
	v_cmp_eq_u32_e64 s[4:5], 0, v1
	v_add_u32_e32 v1, -1, v0
	v_and_b32_e32 v4, 64, v0
	v_cmp_lt_i32_e32 vcc, v1, v4
	v_lshlrev_b32_e32 v10, 4, v2
	v_cndmask_b32_e32 v1, v1, v0, vcc
	v_cmp_eq_u32_e32 vcc, 0, v0
	v_cmp_eq_u32_e64 s[14:15], 0, v2
	v_mov_b32_e32 v16, s19
	v_or_b32_e32 v9, 4, v10
	v_cmp_lt_u32_e64 s[2:3], 31, v0
	v_cmp_eq_u32_e64 s[0:1], 63, v2
	v_lshlrev_b32_e32 v11, 2, v1
	s_or_b64 s[16:17], s[14:15], vcc
	v_lshlrev_b32_e32 v13, 2, v0
	s_and_b64 vcc, exec, s[24:25]
	s_cbranch_vccnz .LBB53_10
; %bb.1:
	s_sub_i32 s19, s23, s22
	v_mov_b32_e32 v0, 0
	s_waitcnt vmcnt(0)
	v_mov_b32_e32 v5, v14
	v_mov_b32_e32 v4, v15
	s_branch .LBB53_3
.LBB53_2:                               ;   in Loop: Header=BB53_3 Depth=1
	; wave barrier
	ds_write_b32 v1, v18
	s_waitcnt lgkmcnt(0)
	; wave barrier
	s_waitcnt lgkmcnt(0)
	ds_read_b32 v4, v13
	s_waitcnt lgkmcnt(0)
	; wave barrier
	s_waitcnt lgkmcnt(0)
	ds_write_b32 v1, v17
	s_waitcnt lgkmcnt(0)
	; wave barrier
	s_waitcnt lgkmcnt(0)
	ds_read_b32 v5, v13
	s_add_i32 s19, s19, -8
	s_waitcnt lgkmcnt(0)
	; wave barrier
	s_waitcnt lgkmcnt(0)
	s_cbranch_execz .LBB53_9
.LBB53_3:                               ; =>This Inner Loop Header: Depth=1
	v_mov_b32_e32 v18, v4
	s_min_u32 s14, s19, 8
	v_lshrrev_b32_e32 v1, s22, v18
	v_bfe_u32 v4, v1, 0, s14
	v_add_u32_e32 v1, v4, v12
	v_lshl_add_u32 v19, v1, 2, 4
	v_and_b32_e32 v1, 1, v4
	v_mov_b32_e32 v17, v5
	v_add_co_u32_e32 v5, vcc, -1, v1
	v_addc_co_u32_e64 v6, s[14:15], 0, -1, vcc
	v_cmp_ne_u32_e32 vcc, 0, v1
	v_xor_b32_e32 v1, vcc_hi, v6
	v_and_b32_e32 v6, exec_hi, v1
	v_lshlrev_b32_e32 v1, 30, v4
	v_xor_b32_e32 v5, vcc_lo, v5
	v_cmp_gt_i64_e32 vcc, 0, v[0:1]
	v_not_b32_e32 v1, v1
	v_ashrrev_i32_e32 v1, 31, v1
	v_and_b32_e32 v5, exec_lo, v5
	v_xor_b32_e32 v7, vcc_hi, v1
	v_xor_b32_e32 v1, vcc_lo, v1
	v_and_b32_e32 v5, v5, v1
	v_lshlrev_b32_e32 v1, 29, v4
	v_cmp_gt_i64_e32 vcc, 0, v[0:1]
	v_not_b32_e32 v1, v1
	v_ashrrev_i32_e32 v1, 31, v1
	v_and_b32_e32 v6, v6, v7
	v_xor_b32_e32 v7, vcc_hi, v1
	v_xor_b32_e32 v1, vcc_lo, v1
	v_and_b32_e32 v5, v5, v1
	v_lshlrev_b32_e32 v1, 28, v4
	v_cmp_gt_i64_e32 vcc, 0, v[0:1]
	v_not_b32_e32 v1, v1
	v_ashrrev_i32_e32 v1, 31, v1
	v_and_b32_e32 v6, v6, v7
	;; [unrolled: 8-line block ×5, first 2 shown]
	v_xor_b32_e32 v7, vcc_hi, v1
	v_xor_b32_e32 v1, vcc_lo, v1
	v_and_b32_e32 v6, v6, v7
	v_and_b32_e32 v7, v5, v1
	v_lshlrev_b32_e32 v1, 24, v4
	v_cmp_gt_i64_e32 vcc, 0, v[0:1]
	v_not_b32_e32 v1, v1
	v_ashrrev_i32_e32 v1, 31, v1
	v_xor_b32_e32 v4, vcc_hi, v1
	v_xor_b32_e32 v1, vcc_lo, v1
	v_and_b32_e32 v5, v6, v4
	v_and_b32_e32 v4, v7, v1
	v_mbcnt_lo_u32_b32 v1, v4, 0
	v_mbcnt_hi_u32_b32 v1, v5, v1
	v_cmp_eq_u32_e32 vcc, 0, v1
	v_cmp_ne_u64_e64 s[14:15], 0, v[4:5]
	s_and_b64 s[24:25], s[14:15], vcc
	ds_write2_b32 v10, v0, v0 offset0:1 offset1:2
	ds_write2_b32 v9, v0, v0 offset0:2 offset1:3
	s_waitcnt lgkmcnt(0)
	; wave barrier
	s_waitcnt lgkmcnt(0)
	; wave barrier
	s_and_saveexec_b64 s[14:15], s[24:25]
	s_cbranch_execz .LBB53_5
; %bb.4:                                ;   in Loop: Header=BB53_3 Depth=1
	v_bcnt_u32_b32 v4, v4, 0
	v_bcnt_u32_b32 v4, v5, v4
	ds_write_b32 v19, v4
.LBB53_5:                               ;   in Loop: Header=BB53_3 Depth=1
	s_or_b64 exec, exec, s[14:15]
	; wave barrier
	s_waitcnt lgkmcnt(0)
	; wave barrier
	s_waitcnt lgkmcnt(0)
	ds_read2_b32 v[6:7], v10 offset0:1 offset1:2
	ds_read2_b32 v[4:5], v9 offset0:2 offset1:3
	s_waitcnt lgkmcnt(1)
	v_add_u32_e32 v20, v7, v6
	s_waitcnt lgkmcnt(0)
	v_add3_u32 v5, v20, v4, v5
	s_nop 1
	v_mov_b32_dpp v20, v5 row_shr:1 row_mask:0xf bank_mask:0xf
	v_cndmask_b32_e64 v20, v20, 0, s[12:13]
	v_add_u32_e32 v5, v20, v5
	s_nop 1
	v_mov_b32_dpp v20, v5 row_shr:2 row_mask:0xf bank_mask:0xf
	v_cndmask_b32_e64 v20, 0, v20, s[10:11]
	v_add_u32_e32 v5, v5, v20
	s_nop 1
	v_mov_b32_dpp v20, v5 row_shr:4 row_mask:0xf bank_mask:0xf
	v_cndmask_b32_e64 v20, 0, v20, s[8:9]
	v_add_u32_e32 v5, v5, v20
	s_nop 1
	v_mov_b32_dpp v20, v5 row_shr:8 row_mask:0xf bank_mask:0xf
	v_cndmask_b32_e64 v20, 0, v20, s[6:7]
	v_add_u32_e32 v5, v5, v20
	s_nop 1
	v_mov_b32_dpp v20, v5 row_bcast:15 row_mask:0xf bank_mask:0xf
	v_cndmask_b32_e64 v20, v20, 0, s[4:5]
	v_add_u32_e32 v5, v5, v20
	s_nop 1
	v_mov_b32_dpp v20, v5 row_bcast:31 row_mask:0xf bank_mask:0xf
	v_cndmask_b32_e64 v20, 0, v20, s[2:3]
	v_add_u32_e32 v5, v5, v20
	s_and_saveexec_b64 s[14:15], s[0:1]
	s_cbranch_execz .LBB53_7
; %bb.6:                                ;   in Loop: Header=BB53_3 Depth=1
	ds_write_b32 v0, v5
.LBB53_7:                               ;   in Loop: Header=BB53_3 Depth=1
	s_or_b64 exec, exec, s[14:15]
	ds_bpermute_b32 v5, v11, v5
	s_waitcnt lgkmcnt(0)
	; wave barrier
	s_waitcnt lgkmcnt(0)
	s_add_i32 s22, s22, 8
	v_lshlrev_b32_e32 v1, 2, v1
	v_cndmask_b32_e64 v5, v5, 0, s[16:17]
	v_add_u32_e32 v6, v5, v6
	v_add_u32_e32 v7, v6, v7
	;; [unrolled: 1-line block ×3, first 2 shown]
	ds_write2_b32 v10, v5, v6 offset0:1 offset1:2
	ds_write2_b32 v9, v7, v4 offset0:2 offset1:3
	s_waitcnt lgkmcnt(0)
	; wave barrier
	s_waitcnt lgkmcnt(0)
	ds_read_b32 v4, v19
	s_cmp_ge_u32 s22, s23
	s_waitcnt lgkmcnt(0)
	v_lshl_add_u32 v1, v4, 2, v1
	s_cbranch_scc0 .LBB53_2
; %bb.8:
                                        ; implicit-def: $vgpr4
                                        ; implicit-def: $vgpr5
                                        ; implicit-def: $sgpr19
.LBB53_9:
	v_lshlrev_b32_e32 v5, 2, v2
	; wave barrier
	ds_write_b32 v1, v18
	s_waitcnt lgkmcnt(0)
	; wave barrier
	s_waitcnt lgkmcnt(0)
	ds_read_b32 v4, v5
	s_mov_b64 s[14:15], 0
	s_waitcnt lgkmcnt(0)
	; wave barrier
	s_waitcnt lgkmcnt(0)
	ds_write_b32 v1, v17
	s_waitcnt lgkmcnt(0)
	; wave barrier
	s_branch .LBB53_11
.LBB53_10:
	s_mov_b64 s[14:15], -1
                                        ; implicit-def: $vgpr5
                                        ; implicit-def: $vgpr4
.LBB53_11:
	v_add_co_u32_e32 v0, vcc, s18, v8
	v_addc_co_u32_e32 v1, vcc, 0, v16, vcc
	v_add_co_u32_e32 v2, vcc, s20, v8
	v_addc_co_u32_e32 v3, vcc, 0, v3, vcc
	s_and_b64 vcc, exec, s[14:15]
	s_cbranch_vccz .LBB53_29
; %bb.12:
	s_waitcnt vmcnt(1)
	v_and_b32_e32 v5, 0xff, v15
	v_add_lshl_u32 v16, v12, v5, 2
	v_and_b32_e32 v5, 1, v15
	v_add_co_u32_e32 v6, vcc, -1, v5
	v_addc_co_u32_e64 v7, s[14:15], 0, -1, vcc
	v_cmp_ne_u32_e32 vcc, 0, v5
	v_xor_b32_e32 v5, vcc_hi, v7
	v_mov_b32_e32 v4, 0
	v_and_b32_e32 v7, exec_hi, v5
	v_lshlrev_b32_e32 v5, 30, v15
	v_xor_b32_e32 v6, vcc_lo, v6
	v_cmp_gt_i64_e32 vcc, 0, v[4:5]
	v_not_b32_e32 v5, v5
	v_ashrrev_i32_e32 v5, 31, v5
	v_and_b32_e32 v6, exec_lo, v6
	v_xor_b32_e32 v17, vcc_hi, v5
	v_xor_b32_e32 v5, vcc_lo, v5
	v_and_b32_e32 v6, v6, v5
	v_lshlrev_b32_e32 v5, 29, v15
	v_cmp_gt_i64_e32 vcc, 0, v[4:5]
	v_not_b32_e32 v5, v5
	v_ashrrev_i32_e32 v5, 31, v5
	v_and_b32_e32 v7, v7, v17
	v_xor_b32_e32 v17, vcc_hi, v5
	v_xor_b32_e32 v5, vcc_lo, v5
	v_and_b32_e32 v6, v6, v5
	v_lshlrev_b32_e32 v5, 28, v15
	v_cmp_gt_i64_e32 vcc, 0, v[4:5]
	v_not_b32_e32 v5, v5
	v_ashrrev_i32_e32 v5, 31, v5
	v_and_b32_e32 v7, v7, v17
	;; [unrolled: 8-line block ×5, first 2 shown]
	v_xor_b32_e32 v17, vcc_hi, v5
	v_xor_b32_e32 v5, vcc_lo, v5
	v_and_b32_e32 v6, v6, v5
	v_lshlrev_b32_e32 v5, 24, v15
	ds_write2_b32 v10, v4, v4 offset0:1 offset1:2
	ds_write2_b32 v9, v4, v4 offset0:2 offset1:3
	v_cmp_gt_i64_e32 vcc, 0, v[4:5]
	v_not_b32_e32 v4, v5
	v_ashrrev_i32_e32 v4, 31, v4
	v_xor_b32_e32 v5, vcc_hi, v4
	v_xor_b32_e32 v4, vcc_lo, v4
	v_and_b32_e32 v7, v7, v17
	v_and_b32_e32 v4, v6, v4
	;; [unrolled: 1-line block ×3, first 2 shown]
	v_mbcnt_lo_u32_b32 v6, v4, 0
	v_mbcnt_hi_u32_b32 v17, v5, v6
	v_cmp_eq_u32_e32 vcc, 0, v17
	v_cmp_ne_u64_e64 s[14:15], 0, v[4:5]
	s_and_b64 s[18:19], s[14:15], vcc
	s_waitcnt lgkmcnt(0)
	; wave barrier
	s_waitcnt lgkmcnt(0)
	; wave barrier
	s_and_saveexec_b64 s[14:15], s[18:19]
	s_cbranch_execz .LBB53_14
; %bb.13:
	v_bcnt_u32_b32 v4, v4, 0
	v_bcnt_u32_b32 v4, v5, v4
	ds_write_b32 v16, v4 offset:4
.LBB53_14:
	s_or_b64 exec, exec, s[14:15]
	; wave barrier
	s_waitcnt lgkmcnt(0)
	; wave barrier
	s_waitcnt lgkmcnt(0)
	ds_read2_b32 v[6:7], v10 offset0:1 offset1:2
	ds_read2_b32 v[4:5], v9 offset0:2 offset1:3
	s_waitcnt lgkmcnt(1)
	v_add_u32_e32 v18, v7, v6
	s_waitcnt lgkmcnt(0)
	v_add3_u32 v5, v18, v4, v5
	s_nop 1
	v_mov_b32_dpp v18, v5 row_shr:1 row_mask:0xf bank_mask:0xf
	v_cndmask_b32_e64 v18, v18, 0, s[12:13]
	v_add_u32_e32 v5, v18, v5
	s_nop 1
	v_mov_b32_dpp v18, v5 row_shr:2 row_mask:0xf bank_mask:0xf
	v_cndmask_b32_e64 v18, 0, v18, s[10:11]
	v_add_u32_e32 v5, v5, v18
	;; [unrolled: 4-line block ×4, first 2 shown]
	s_nop 1
	v_mov_b32_dpp v18, v5 row_bcast:15 row_mask:0xf bank_mask:0xf
	v_cndmask_b32_e64 v18, v18, 0, s[4:5]
	v_add_u32_e32 v5, v5, v18
	s_nop 1
	v_mov_b32_dpp v18, v5 row_bcast:31 row_mask:0xf bank_mask:0xf
	v_cndmask_b32_e64 v18, 0, v18, s[2:3]
	v_add_u32_e32 v5, v5, v18
	s_and_saveexec_b64 s[14:15], s[0:1]
	s_cbranch_execz .LBB53_16
; %bb.15:
	v_mov_b32_e32 v18, 0
	ds_write_b32 v18, v5
.LBB53_16:
	s_or_b64 exec, exec, s[14:15]
	ds_bpermute_b32 v5, v11, v5
	s_waitcnt lgkmcnt(0)
	; wave barrier
	s_waitcnt lgkmcnt(0)
	v_cndmask_b32_e64 v5, v5, 0, s[16:17]
	v_add_u32_e32 v6, v5, v6
	v_add_u32_e32 v7, v6, v7
	;; [unrolled: 1-line block ×3, first 2 shown]
	ds_write2_b32 v10, v5, v6 offset0:1 offset1:2
	ds_write2_b32 v9, v7, v4 offset0:2 offset1:3
	s_waitcnt lgkmcnt(0)
	; wave barrier
	s_waitcnt lgkmcnt(0)
	ds_read_b32 v5, v16 offset:4
	v_lshlrev_b32_e32 v6, 2, v17
	s_waitcnt lgkmcnt(0)
	; wave barrier
	s_waitcnt lgkmcnt(0)
	v_mov_b32_e32 v4, 0
	v_lshl_add_u32 v5, v5, 2, v6
	ds_write_b32 v5, v15
	s_waitcnt lgkmcnt(0)
	; wave barrier
	s_waitcnt lgkmcnt(0)
	ds_read_b32 v15, v13
	s_waitcnt lgkmcnt(0)
	; wave barrier
	s_waitcnt vmcnt(0) lgkmcnt(0)
	ds_write_b32 v5, v14
	s_waitcnt lgkmcnt(0)
	v_bfe_u32 v5, v15, 8, 8
	v_add_lshl_u32 v14, v5, v12, 2
	v_bfe_u32 v5, v15, 8, 1
	v_add_co_u32_e32 v7, vcc, -1, v5
	v_addc_co_u32_e64 v17, s[14:15], 0, -1, vcc
	v_cmp_ne_u32_e32 vcc, 0, v5
	v_lshrrev_b32_e32 v6, 8, v15
	v_xor_b32_e32 v5, vcc_hi, v17
	v_and_b32_e32 v17, exec_hi, v5
	v_lshlrev_b32_e32 v5, 30, v6
	v_xor_b32_e32 v7, vcc_lo, v7
	v_cmp_gt_i64_e32 vcc, 0, v[4:5]
	v_not_b32_e32 v5, v5
	v_ashrrev_i32_e32 v5, 31, v5
	v_and_b32_e32 v7, exec_lo, v7
	v_xor_b32_e32 v18, vcc_hi, v5
	v_xor_b32_e32 v5, vcc_lo, v5
	v_and_b32_e32 v7, v7, v5
	v_lshlrev_b32_e32 v5, 29, v6
	v_cmp_gt_i64_e32 vcc, 0, v[4:5]
	v_not_b32_e32 v5, v5
	v_ashrrev_i32_e32 v5, 31, v5
	v_and_b32_e32 v17, v17, v18
	v_xor_b32_e32 v18, vcc_hi, v5
	v_xor_b32_e32 v5, vcc_lo, v5
	v_and_b32_e32 v7, v7, v5
	v_lshlrev_b32_e32 v5, 28, v6
	v_cmp_gt_i64_e32 vcc, 0, v[4:5]
	v_not_b32_e32 v5, v5
	v_ashrrev_i32_e32 v5, 31, v5
	v_and_b32_e32 v17, v17, v18
	;; [unrolled: 8-line block ×5, first 2 shown]
	v_xor_b32_e32 v18, vcc_hi, v5
	v_xor_b32_e32 v5, vcc_lo, v5
	v_and_b32_e32 v7, v7, v5
	v_lshlrev_b32_e32 v5, 24, v6
	; wave barrier
	ds_read_b32 v16, v13
	s_waitcnt lgkmcnt(0)
	; wave barrier
	s_waitcnt lgkmcnt(0)
	ds_write2_b32 v10, v4, v4 offset0:1 offset1:2
	ds_write2_b32 v9, v4, v4 offset0:2 offset1:3
	v_cmp_gt_i64_e32 vcc, 0, v[4:5]
	v_not_b32_e32 v4, v5
	v_ashrrev_i32_e32 v4, 31, v4
	v_xor_b32_e32 v5, vcc_hi, v4
	v_xor_b32_e32 v4, vcc_lo, v4
	v_and_b32_e32 v17, v17, v18
	v_and_b32_e32 v4, v7, v4
	;; [unrolled: 1-line block ×3, first 2 shown]
	v_mbcnt_lo_u32_b32 v6, v4, 0
	v_mbcnt_hi_u32_b32 v17, v5, v6
	v_cmp_eq_u32_e32 vcc, 0, v17
	v_cmp_ne_u64_e64 s[14:15], 0, v[4:5]
	s_and_b64 s[18:19], s[14:15], vcc
	s_waitcnt lgkmcnt(0)
	; wave barrier
	s_waitcnt lgkmcnt(0)
	; wave barrier
	s_and_saveexec_b64 s[14:15], s[18:19]
	s_cbranch_execz .LBB53_18
; %bb.17:
	v_bcnt_u32_b32 v4, v4, 0
	v_bcnt_u32_b32 v4, v5, v4
	ds_write_b32 v14, v4 offset:4
.LBB53_18:
	s_or_b64 exec, exec, s[14:15]
	; wave barrier
	s_waitcnt lgkmcnt(0)
	; wave barrier
	s_waitcnt lgkmcnt(0)
	ds_read2_b32 v[6:7], v10 offset0:1 offset1:2
	ds_read2_b32 v[4:5], v9 offset0:2 offset1:3
	s_waitcnt lgkmcnt(1)
	v_add_u32_e32 v18, v7, v6
	s_waitcnt lgkmcnt(0)
	v_add3_u32 v5, v18, v4, v5
	s_nop 1
	v_mov_b32_dpp v18, v5 row_shr:1 row_mask:0xf bank_mask:0xf
	v_cndmask_b32_e64 v18, v18, 0, s[12:13]
	v_add_u32_e32 v5, v18, v5
	s_nop 1
	v_mov_b32_dpp v18, v5 row_shr:2 row_mask:0xf bank_mask:0xf
	v_cndmask_b32_e64 v18, 0, v18, s[10:11]
	v_add_u32_e32 v5, v5, v18
	;; [unrolled: 4-line block ×4, first 2 shown]
	s_nop 1
	v_mov_b32_dpp v18, v5 row_bcast:15 row_mask:0xf bank_mask:0xf
	v_cndmask_b32_e64 v18, v18, 0, s[4:5]
	v_add_u32_e32 v5, v5, v18
	s_nop 1
	v_mov_b32_dpp v18, v5 row_bcast:31 row_mask:0xf bank_mask:0xf
	v_cndmask_b32_e64 v18, 0, v18, s[2:3]
	v_add_u32_e32 v5, v5, v18
	s_and_saveexec_b64 s[14:15], s[0:1]
	s_cbranch_execz .LBB53_20
; %bb.19:
	v_mov_b32_e32 v18, 0
	ds_write_b32 v18, v5
.LBB53_20:
	s_or_b64 exec, exec, s[14:15]
	ds_bpermute_b32 v5, v11, v5
	s_waitcnt lgkmcnt(0)
	; wave barrier
	s_waitcnt lgkmcnt(0)
	v_cndmask_b32_e64 v5, v5, 0, s[16:17]
	v_add_u32_e32 v6, v5, v6
	v_add_u32_e32 v7, v6, v7
	;; [unrolled: 1-line block ×3, first 2 shown]
	ds_write2_b32 v10, v5, v6 offset0:1 offset1:2
	ds_write2_b32 v9, v7, v4 offset0:2 offset1:3
	s_waitcnt lgkmcnt(0)
	; wave barrier
	s_waitcnt lgkmcnt(0)
	ds_read_b32 v5, v14 offset:4
	v_lshlrev_b32_e32 v6, 2, v17
	s_waitcnt lgkmcnt(0)
	; wave barrier
	s_waitcnt lgkmcnt(0)
	v_mov_b32_e32 v4, 0
	v_lshl_add_u32 v5, v5, 2, v6
	ds_write_b32 v5, v15
	s_waitcnt lgkmcnt(0)
	; wave barrier
	s_waitcnt lgkmcnt(0)
	ds_read_b32 v14, v13
	s_waitcnt lgkmcnt(0)
	; wave barrier
	s_waitcnt lgkmcnt(0)
	ds_write_b32 v5, v16
	s_waitcnt lgkmcnt(0)
	v_bfe_u32 v5, v14, 16, 8
	v_add_lshl_u32 v16, v5, v12, 2
	v_bfe_u32 v5, v14, 16, 1
	v_add_co_u32_e32 v6, vcc, -1, v5
	v_addc_co_u32_e64 v7, s[14:15], 0, -1, vcc
	v_cmp_ne_u32_e32 vcc, 0, v5
	v_xor_b32_e32 v5, vcc_hi, v7
	v_and_b32_e32 v7, exec_hi, v5
	v_mov_b32_e32 v5, 30
	v_lshlrev_b32_sdwa v5, v5, v14 dst_sel:DWORD dst_unused:UNUSED_PAD src0_sel:DWORD src1_sel:WORD_1
	v_xor_b32_e32 v6, vcc_lo, v6
	v_cmp_gt_i64_e32 vcc, 0, v[4:5]
	v_not_b32_e32 v5, v5
	v_ashrrev_i32_e32 v5, 31, v5
	v_and_b32_e32 v6, exec_lo, v6
	v_xor_b32_e32 v17, vcc_hi, v5
	v_xor_b32_e32 v5, vcc_lo, v5
	v_and_b32_e32 v6, v6, v5
	v_mov_b32_e32 v5, 29
	v_lshlrev_b32_sdwa v5, v5, v14 dst_sel:DWORD dst_unused:UNUSED_PAD src0_sel:DWORD src1_sel:WORD_1
	v_cmp_gt_i64_e32 vcc, 0, v[4:5]
	v_not_b32_e32 v5, v5
	v_ashrrev_i32_e32 v5, 31, v5
	v_and_b32_e32 v7, v7, v17
	v_xor_b32_e32 v17, vcc_hi, v5
	v_xor_b32_e32 v5, vcc_lo, v5
	v_and_b32_e32 v6, v6, v5
	v_mov_b32_e32 v5, 28
	v_lshlrev_b32_sdwa v5, v5, v14 dst_sel:DWORD dst_unused:UNUSED_PAD src0_sel:DWORD src1_sel:WORD_1
	v_cmp_gt_i64_e32 vcc, 0, v[4:5]
	v_not_b32_e32 v5, v5
	v_ashrrev_i32_e32 v5, 31, v5
	v_and_b32_e32 v7, v7, v17
	;; [unrolled: 9-line block ×5, first 2 shown]
	v_xor_b32_e32 v17, vcc_hi, v5
	v_xor_b32_e32 v5, vcc_lo, v5
	v_and_b32_e32 v6, v6, v5
	v_mov_b32_e32 v5, 24
	v_lshlrev_b32_sdwa v5, v5, v14 dst_sel:DWORD dst_unused:UNUSED_PAD src0_sel:DWORD src1_sel:WORD_1
	; wave barrier
	ds_read_b32 v15, v13
	s_waitcnt lgkmcnt(0)
	; wave barrier
	s_waitcnt lgkmcnt(0)
	ds_write2_b32 v10, v4, v4 offset0:1 offset1:2
	ds_write2_b32 v9, v4, v4 offset0:2 offset1:3
	v_cmp_gt_i64_e32 vcc, 0, v[4:5]
	v_not_b32_e32 v4, v5
	v_ashrrev_i32_e32 v4, 31, v4
	v_xor_b32_e32 v5, vcc_hi, v4
	v_xor_b32_e32 v4, vcc_lo, v4
	v_and_b32_e32 v7, v7, v17
	v_and_b32_e32 v4, v6, v4
	;; [unrolled: 1-line block ×3, first 2 shown]
	v_mbcnt_lo_u32_b32 v6, v4, 0
	v_mbcnt_hi_u32_b32 v17, v5, v6
	v_cmp_eq_u32_e32 vcc, 0, v17
	v_cmp_ne_u64_e64 s[14:15], 0, v[4:5]
	s_and_b64 s[18:19], s[14:15], vcc
	s_waitcnt lgkmcnt(0)
	; wave barrier
	s_waitcnt lgkmcnt(0)
	; wave barrier
	s_and_saveexec_b64 s[14:15], s[18:19]
	s_cbranch_execz .LBB53_22
; %bb.21:
	v_bcnt_u32_b32 v4, v4, 0
	v_bcnt_u32_b32 v4, v5, v4
	ds_write_b32 v16, v4 offset:4
.LBB53_22:
	s_or_b64 exec, exec, s[14:15]
	; wave barrier
	s_waitcnt lgkmcnt(0)
	; wave barrier
	s_waitcnt lgkmcnt(0)
	ds_read2_b32 v[6:7], v10 offset0:1 offset1:2
	ds_read2_b32 v[4:5], v9 offset0:2 offset1:3
	s_waitcnt lgkmcnt(1)
	v_add_u32_e32 v18, v7, v6
	s_waitcnt lgkmcnt(0)
	v_add3_u32 v5, v18, v4, v5
	s_nop 1
	v_mov_b32_dpp v18, v5 row_shr:1 row_mask:0xf bank_mask:0xf
	v_cndmask_b32_e64 v18, v18, 0, s[12:13]
	v_add_u32_e32 v5, v18, v5
	s_nop 1
	v_mov_b32_dpp v18, v5 row_shr:2 row_mask:0xf bank_mask:0xf
	v_cndmask_b32_e64 v18, 0, v18, s[10:11]
	v_add_u32_e32 v5, v5, v18
	;; [unrolled: 4-line block ×4, first 2 shown]
	s_nop 1
	v_mov_b32_dpp v18, v5 row_bcast:15 row_mask:0xf bank_mask:0xf
	v_cndmask_b32_e64 v18, v18, 0, s[4:5]
	v_add_u32_e32 v5, v5, v18
	s_nop 1
	v_mov_b32_dpp v18, v5 row_bcast:31 row_mask:0xf bank_mask:0xf
	v_cndmask_b32_e64 v18, 0, v18, s[2:3]
	v_add_u32_e32 v5, v5, v18
	s_and_saveexec_b64 s[14:15], s[0:1]
	s_cbranch_execz .LBB53_24
; %bb.23:
	v_mov_b32_e32 v18, 0
	ds_write_b32 v18, v5
.LBB53_24:
	s_or_b64 exec, exec, s[14:15]
	ds_bpermute_b32 v5, v11, v5
	s_waitcnt lgkmcnt(0)
	; wave barrier
	s_waitcnt lgkmcnt(0)
	v_cndmask_b32_e64 v5, v5, 0, s[16:17]
	v_add_u32_e32 v6, v5, v6
	v_add_u32_e32 v7, v6, v7
	;; [unrolled: 1-line block ×3, first 2 shown]
	ds_write2_b32 v10, v5, v6 offset0:1 offset1:2
	ds_write2_b32 v9, v7, v4 offset0:2 offset1:3
	s_waitcnt lgkmcnt(0)
	; wave barrier
	s_waitcnt lgkmcnt(0)
	ds_read_b32 v5, v16 offset:4
	v_lshlrev_b32_e32 v6, 2, v17
	s_waitcnt lgkmcnt(0)
	; wave barrier
	s_waitcnt lgkmcnt(0)
	v_mov_b32_e32 v4, 0
	v_lshl_add_u32 v5, v5, 2, v6
	ds_write_b32 v5, v14
	s_waitcnt lgkmcnt(0)
	; wave barrier
	s_waitcnt lgkmcnt(0)
	ds_read_b32 v14, v13
	s_waitcnt lgkmcnt(0)
	; wave barrier
	s_waitcnt lgkmcnt(0)
	ds_write_b32 v5, v15
	s_waitcnt lgkmcnt(0)
	v_bfe_u32 v5, v14, 24, 1
	v_add_co_u32_e32 v7, vcc, -1, v5
	v_addc_co_u32_e64 v15, s[14:15], 0, -1, vcc
	v_cmp_ne_u32_e32 vcc, 0, v5
	v_lshrrev_b32_e32 v6, 24, v14
	v_xor_b32_e32 v5, vcc_hi, v15
	v_and_b32_e32 v15, exec_hi, v5
	v_lshlrev_b32_e32 v5, 30, v6
	v_xor_b32_e32 v7, vcc_lo, v7
	v_cmp_gt_i64_e32 vcc, 0, v[4:5]
	v_not_b32_e32 v5, v5
	v_ashrrev_i32_e32 v5, 31, v5
	v_and_b32_e32 v7, exec_lo, v7
	v_xor_b32_e32 v16, vcc_hi, v5
	v_xor_b32_e32 v5, vcc_lo, v5
	v_and_b32_e32 v7, v7, v5
	v_lshlrev_b32_e32 v5, 29, v6
	v_cmp_gt_i64_e32 vcc, 0, v[4:5]
	v_not_b32_e32 v5, v5
	v_ashrrev_i32_e32 v5, 31, v5
	v_and_b32_e32 v15, v15, v16
	v_xor_b32_e32 v16, vcc_hi, v5
	v_xor_b32_e32 v5, vcc_lo, v5
	v_and_b32_e32 v7, v7, v5
	v_lshlrev_b32_e32 v5, 28, v6
	v_cmp_gt_i64_e32 vcc, 0, v[4:5]
	v_not_b32_e32 v5, v5
	v_ashrrev_i32_e32 v5, 31, v5
	v_and_b32_e32 v15, v15, v16
	;; [unrolled: 8-line block ×4, first 2 shown]
	v_xor_b32_e32 v16, vcc_hi, v5
	v_xor_b32_e32 v5, vcc_lo, v5
	v_and_b32_e32 v7, v7, v5
	v_lshlrev_b32_e32 v5, 25, v6
	v_cmp_gt_i64_e32 vcc, 0, v[4:5]
	v_not_b32_e32 v5, v5
	v_ashrrev_i32_e32 v5, 31, v5
	v_add_lshl_u32 v12, v6, v12, 2
	v_xor_b32_e32 v6, vcc_hi, v5
	v_xor_b32_e32 v5, vcc_lo, v5
	v_and_b32_e32 v7, v7, v5
	v_and_b32_e32 v5, 0xff000000, v14
	; wave barrier
	ds_read_b32 v13, v13
	s_waitcnt lgkmcnt(0)
	; wave barrier
	s_waitcnt lgkmcnt(0)
	ds_write2_b32 v10, v4, v4 offset0:1 offset1:2
	ds_write2_b32 v9, v4, v4 offset0:2 offset1:3
	v_cmp_gt_i64_e32 vcc, 0, v[4:5]
	v_not_b32_e32 v4, v5
	v_ashrrev_i32_e32 v4, 31, v4
	v_and_b32_e32 v15, v15, v16
	v_xor_b32_e32 v5, vcc_hi, v4
	v_xor_b32_e32 v4, vcc_lo, v4
	v_and_b32_e32 v6, v15, v6
	v_and_b32_e32 v4, v7, v4
	;; [unrolled: 1-line block ×3, first 2 shown]
	v_mbcnt_lo_u32_b32 v6, v4, 0
	v_mbcnt_hi_u32_b32 v15, v5, v6
	v_cmp_eq_u32_e32 vcc, 0, v15
	v_cmp_ne_u64_e64 s[14:15], 0, v[4:5]
	s_and_b64 s[18:19], s[14:15], vcc
	s_waitcnt lgkmcnt(0)
	; wave barrier
	s_waitcnt lgkmcnt(0)
	; wave barrier
	s_and_saveexec_b64 s[14:15], s[18:19]
	s_cbranch_execz .LBB53_26
; %bb.25:
	v_bcnt_u32_b32 v4, v4, 0
	v_bcnt_u32_b32 v4, v5, v4
	ds_write_b32 v12, v4 offset:4
.LBB53_26:
	s_or_b64 exec, exec, s[14:15]
	; wave barrier
	s_waitcnt lgkmcnt(0)
	; wave barrier
	s_waitcnt lgkmcnt(0)
	ds_read2_b32 v[6:7], v10 offset0:1 offset1:2
	ds_read2_b32 v[4:5], v9 offset0:2 offset1:3
	s_waitcnt lgkmcnt(1)
	v_add_u32_e32 v16, v7, v6
	s_waitcnt lgkmcnt(0)
	v_add3_u32 v5, v16, v4, v5
	s_nop 1
	v_mov_b32_dpp v16, v5 row_shr:1 row_mask:0xf bank_mask:0xf
	v_cndmask_b32_e64 v16, v16, 0, s[12:13]
	v_add_u32_e32 v5, v16, v5
	s_nop 1
	v_mov_b32_dpp v16, v5 row_shr:2 row_mask:0xf bank_mask:0xf
	v_cndmask_b32_e64 v16, 0, v16, s[10:11]
	v_add_u32_e32 v5, v5, v16
	;; [unrolled: 4-line block ×4, first 2 shown]
	s_nop 1
	v_mov_b32_dpp v16, v5 row_bcast:15 row_mask:0xf bank_mask:0xf
	v_cndmask_b32_e64 v16, v16, 0, s[4:5]
	v_add_u32_e32 v5, v5, v16
	s_nop 1
	v_mov_b32_dpp v16, v5 row_bcast:31 row_mask:0xf bank_mask:0xf
	v_cndmask_b32_e64 v16, 0, v16, s[2:3]
	v_add_u32_e32 v5, v5, v16
	s_and_saveexec_b64 s[2:3], s[0:1]
	s_cbranch_execz .LBB53_28
; %bb.27:
	v_mov_b32_e32 v16, 0
	ds_write_b32 v16, v5
.LBB53_28:
	s_or_b64 exec, exec, s[2:3]
	ds_bpermute_b32 v5, v11, v5
	s_waitcnt lgkmcnt(0)
	; wave barrier
	s_waitcnt lgkmcnt(0)
	v_cndmask_b32_e64 v5, v5, 0, s[16:17]
	v_add_u32_e32 v6, v5, v6
	v_add_u32_e32 v7, v6, v7
	;; [unrolled: 1-line block ×3, first 2 shown]
	ds_write2_b32 v10, v5, v6 offset0:1 offset1:2
	ds_write2_b32 v9, v7, v4 offset0:2 offset1:3
	s_waitcnt lgkmcnt(0)
	; wave barrier
	s_waitcnt lgkmcnt(0)
	ds_read_b32 v4, v12 offset:4
	v_lshlrev_b32_e32 v5, 2, v15
	s_waitcnt lgkmcnt(0)
	; wave barrier
	s_waitcnt lgkmcnt(0)
	v_lshl_add_u32 v5, v4, 2, v5
	ds_write_b32 v5, v14
	s_waitcnt lgkmcnt(0)
	; wave barrier
	s_waitcnt lgkmcnt(0)
	ds_read_b32 v4, v8
	s_waitcnt lgkmcnt(0)
	; wave barrier
	s_waitcnt lgkmcnt(0)
	ds_write_b32 v5, v13
	s_waitcnt lgkmcnt(0)
	; wave barrier
	v_mov_b32_e32 v5, v8
.LBB53_29:
	s_waitcnt lgkmcnt(0)
	ds_read_b32 v5, v5
	global_store_dword v[0:1], v4, off
	s_waitcnt lgkmcnt(0)
	global_store_dword v[2:3], v5, off
	s_endpgm
	.section	.rodata,"a",@progbits
	.p2align	6, 0x0
	.amdhsa_kernel _Z21sort_key_value_kernelILj64ELj1ELb0ELb0EjiEvPT3_PT4_jj
		.amdhsa_group_segment_fixed_size 1040
		.amdhsa_private_segment_fixed_size 0
		.amdhsa_kernarg_size 280
		.amdhsa_user_sgpr_count 6
		.amdhsa_user_sgpr_private_segment_buffer 1
		.amdhsa_user_sgpr_dispatch_ptr 0
		.amdhsa_user_sgpr_queue_ptr 0
		.amdhsa_user_sgpr_kernarg_segment_ptr 1
		.amdhsa_user_sgpr_dispatch_id 0
		.amdhsa_user_sgpr_flat_scratch_init 0
		.amdhsa_user_sgpr_kernarg_preload_length 0
		.amdhsa_user_sgpr_kernarg_preload_offset 0
		.amdhsa_user_sgpr_private_segment_size 0
		.amdhsa_uses_dynamic_stack 0
		.amdhsa_system_sgpr_private_segment_wavefront_offset 0
		.amdhsa_system_sgpr_workgroup_id_x 1
		.amdhsa_system_sgpr_workgroup_id_y 0
		.amdhsa_system_sgpr_workgroup_id_z 0
		.amdhsa_system_sgpr_workgroup_info 0
		.amdhsa_system_vgpr_workitem_id 2
		.amdhsa_next_free_vgpr 21
		.amdhsa_next_free_sgpr 26
		.amdhsa_accum_offset 24
		.amdhsa_reserve_vcc 1
		.amdhsa_reserve_flat_scratch 0
		.amdhsa_float_round_mode_32 0
		.amdhsa_float_round_mode_16_64 0
		.amdhsa_float_denorm_mode_32 3
		.amdhsa_float_denorm_mode_16_64 3
		.amdhsa_dx10_clamp 1
		.amdhsa_ieee_mode 1
		.amdhsa_fp16_overflow 0
		.amdhsa_tg_split 0
		.amdhsa_exception_fp_ieee_invalid_op 0
		.amdhsa_exception_fp_denorm_src 0
		.amdhsa_exception_fp_ieee_div_zero 0
		.amdhsa_exception_fp_ieee_overflow 0
		.amdhsa_exception_fp_ieee_underflow 0
		.amdhsa_exception_fp_ieee_inexact 0
		.amdhsa_exception_int_div_zero 0
	.end_amdhsa_kernel
	.section	.text._Z21sort_key_value_kernelILj64ELj1ELb0ELb0EjiEvPT3_PT4_jj,"axG",@progbits,_Z21sort_key_value_kernelILj64ELj1ELb0ELb0EjiEvPT3_PT4_jj,comdat
.Lfunc_end53:
	.size	_Z21sort_key_value_kernelILj64ELj1ELb0ELb0EjiEvPT3_PT4_jj, .Lfunc_end53-_Z21sort_key_value_kernelILj64ELj1ELb0ELb0EjiEvPT3_PT4_jj
                                        ; -- End function
	.section	.AMDGPU.csdata,"",@progbits
; Kernel info:
; codeLenInByte = 4200
; NumSgprs: 30
; NumVgprs: 21
; NumAgprs: 0
; TotalNumVgprs: 21
; ScratchSize: 0
; MemoryBound: 0
; FloatMode: 240
; IeeeMode: 1
; LDSByteSize: 1040 bytes/workgroup (compile time only)
; SGPRBlocks: 3
; VGPRBlocks: 2
; NumSGPRsForWavesPerEU: 30
; NumVGPRsForWavesPerEU: 21
; AccumOffset: 24
; Occupancy: 8
; WaveLimiterHint : 0
; COMPUTE_PGM_RSRC2:SCRATCH_EN: 0
; COMPUTE_PGM_RSRC2:USER_SGPR: 6
; COMPUTE_PGM_RSRC2:TRAP_HANDLER: 0
; COMPUTE_PGM_RSRC2:TGID_X_EN: 1
; COMPUTE_PGM_RSRC2:TGID_Y_EN: 0
; COMPUTE_PGM_RSRC2:TGID_Z_EN: 0
; COMPUTE_PGM_RSRC2:TIDIG_COMP_CNT: 2
; COMPUTE_PGM_RSRC3_GFX90A:ACCUM_OFFSET: 5
; COMPUTE_PGM_RSRC3_GFX90A:TG_SPLIT: 0
	.section	.text._Z21sort_key_value_kernelILj64ELj1ELb0ELb0EooEvPT3_PT4_jj,"axG",@progbits,_Z21sort_key_value_kernelILj64ELj1ELb0ELb0EooEvPT3_PT4_jj,comdat
	.protected	_Z21sort_key_value_kernelILj64ELj1ELb0ELb0EooEvPT3_PT4_jj ; -- Begin function _Z21sort_key_value_kernelILj64ELj1ELb0ELb0EooEvPT3_PT4_jj
	.globl	_Z21sort_key_value_kernelILj64ELj1ELb0ELb0EooEvPT3_PT4_jj
	.p2align	8
	.type	_Z21sort_key_value_kernelILj64ELj1ELb0ELb0EooEvPT3_PT4_jj,@function
_Z21sort_key_value_kernelILj64ELj1ELb0ELb0EooEvPT3_PT4_jj: ; @_Z21sort_key_value_kernelILj64ELj1ELb0ELb0EooEvPT3_PT4_jj
; %bb.0:
	s_load_dwordx4 s[0:3], s[4:5], 0x0
	s_load_dwordx2 s[22:23], s[4:5], 0x10
	s_lshl_b32 s6, s6, 6
	s_mov_b32 s7, 0
	s_lshl_b64 s[6:7], s[6:7], 4
	s_waitcnt lgkmcnt(0)
	s_add_u32 s18, s0, s6
	v_and_b32_e32 v26, 0x3ff, v0
	s_addc_u32 s19, s1, s7
	v_lshlrev_b32_e32 v27, 4, v26
	s_add_u32 s20, s2, s6
	s_addc_u32 s21, s3, s7
	global_load_dwordx4 v[2:5], v27, s[18:19]
	global_load_dwordx4 v[6:9], v27, s[20:21]
	s_load_dword s4, s[4:5], 0x24
	s_cmp_eq_u32 s22, 0
	s_cselect_b64 s[0:1], -1, 0
	s_cmpk_eq_i32 s23, 0x80
	s_cselect_b64 s[2:3], -1, 0
	s_and_b64 s[24:25], s[0:1], s[2:3]
	s_waitcnt lgkmcnt(0)
	s_lshr_b32 s0, s4, 16
	v_bfe_u32 v1, v0, 10, 10
	v_bfe_u32 v0, v0, 20, 10
	s_and_b32 s1, s4, 0xffff
	v_mad_u32_u24 v0, v0, s0, v1
	v_mad_u64_u32 v[0:1], s[0:1], v0, s1, v[26:27]
	v_lshrrev_b32_e32 v29, 6, v0
	v_mbcnt_lo_u32_b32 v0, -1, 0
	v_mbcnt_hi_u32_b32 v0, -1, v0
	v_and_b32_e32 v1, 15, v0
	v_cmp_eq_u32_e64 s[0:1], 0, v1
	v_cmp_lt_u32_e64 s[2:3], 1, v1
	v_cmp_lt_u32_e64 s[4:5], 3, v1
	;; [unrolled: 1-line block ×3, first 2 shown]
	v_and_b32_e32 v1, 16, v0
	v_cmp_eq_u32_e64 s[8:9], 0, v1
	v_add_u32_e32 v1, -1, v0
	v_and_b32_e32 v10, 64, v0
	v_cmp_lt_i32_e32 vcc, v1, v10
	v_cndmask_b32_e32 v1, v1, v0, vcc
	v_cmp_eq_u32_e32 vcc, 0, v0
	v_cmp_eq_u32_e64 s[14:15], 0, v26
	v_mov_b32_e32 v33, s19
	v_mov_b32_e32 v32, s21
	v_or_b32_e32 v28, 4, v27
	v_cmp_lt_u32_e64 s[10:11], 31, v0
	v_cmp_eq_u32_e64 s[12:13], 63, v26
	v_lshlrev_b32_e32 v30, 2, v1
	s_or_b64 s[16:17], s[14:15], vcc
	v_lshlrev_b32_e32 v31, 4, v0
	s_and_b64 vcc, exec, s[24:25]
	s_cbranch_vccnz .LBB54_10
; %bb.1:
	s_sub_i32 s19, s23, s22
	v_mov_b32_e32 v0, 0
	s_waitcnt vmcnt(0)
	v_pk_mov_b32 v[22:23], v[6:7], v[6:7] op_sel:[0,1]
	v_pk_mov_b32 v[24:25], v[8:9], v[8:9] op_sel:[0,1]
	;; [unrolled: 1-line block ×4, first 2 shown]
	s_branch .LBB54_3
.LBB54_2:                               ;   in Loop: Header=BB54_3 Depth=1
	; wave barrier
	ds_write_b128 v1, v[14:17]
	s_waitcnt lgkmcnt(0)
	; wave barrier
	s_waitcnt lgkmcnt(0)
	ds_read_b128 v[18:21], v31
	s_waitcnt lgkmcnt(0)
	; wave barrier
	s_waitcnt lgkmcnt(0)
	ds_write_b128 v1, v[10:13]
	s_waitcnt lgkmcnt(0)
	; wave barrier
	s_waitcnt lgkmcnt(0)
	ds_read_b128 v[22:25], v31
	s_add_i32 s19, s19, -8
	s_waitcnt lgkmcnt(0)
	; wave barrier
	s_waitcnt lgkmcnt(0)
	s_cbranch_execz .LBB54_9
.LBB54_3:                               ; =>This Inner Loop Header: Depth=1
	v_pk_mov_b32 v[16:17], v[20:21], v[20:21] op_sel:[0,1]
	s_sub_i32 s15, 64, s22
	v_pk_mov_b32 v[14:15], v[18:19], v[18:19] op_sel:[0,1]
	s_min_u32 s14, s19, 8
	v_lshlrev_b64 v[20:21], s15, v[16:17]
	s_sub_i32 s15, s22, 64
	v_lshrrev_b64 v[18:19], s22, v[14:15]
	s_cmp_lt_u32 s22, 64
	v_or_b32_e32 v1, v18, v20
	v_lshrrev_b64 v[18:19], s15, v[16:17]
	s_cselect_b64 vcc, -1, 0
	s_cmp_eq_u32 s22, 0
	v_cndmask_b32_e32 v1, v18, v1, vcc
	s_cselect_b64 vcc, -1, 0
	v_cndmask_b32_e32 v1, v1, v14, vcc
	v_bfe_u32 v18, v1, 0, s14
	v_add_u32_e32 v1, v18, v29
	v_pk_mov_b32 v[10:11], v[22:23], v[22:23] op_sel:[0,1]
	v_lshl_add_u32 v22, v1, 2, 4
	v_and_b32_e32 v1, 1, v18
	v_add_co_u32_e32 v19, vcc, -1, v1
	v_addc_co_u32_e64 v20, s[14:15], 0, -1, vcc
	v_cmp_ne_u32_e32 vcc, 0, v1
	v_xor_b32_e32 v1, vcc_hi, v20
	v_and_b32_e32 v20, exec_hi, v1
	v_lshlrev_b32_e32 v1, 30, v18
	v_xor_b32_e32 v19, vcc_lo, v19
	v_cmp_gt_i64_e32 vcc, 0, v[0:1]
	v_not_b32_e32 v1, v1
	v_ashrrev_i32_e32 v1, 31, v1
	v_and_b32_e32 v19, exec_lo, v19
	v_xor_b32_e32 v21, vcc_hi, v1
	v_xor_b32_e32 v1, vcc_lo, v1
	v_and_b32_e32 v19, v19, v1
	v_lshlrev_b32_e32 v1, 29, v18
	v_cmp_gt_i64_e32 vcc, 0, v[0:1]
	v_not_b32_e32 v1, v1
	v_ashrrev_i32_e32 v1, 31, v1
	v_and_b32_e32 v20, v20, v21
	v_xor_b32_e32 v21, vcc_hi, v1
	v_xor_b32_e32 v1, vcc_lo, v1
	v_and_b32_e32 v19, v19, v1
	v_lshlrev_b32_e32 v1, 28, v18
	v_cmp_gt_i64_e32 vcc, 0, v[0:1]
	v_not_b32_e32 v1, v1
	v_ashrrev_i32_e32 v1, 31, v1
	v_and_b32_e32 v20, v20, v21
	;; [unrolled: 8-line block ×5, first 2 shown]
	v_xor_b32_e32 v21, vcc_hi, v1
	v_xor_b32_e32 v1, vcc_lo, v1
	v_and_b32_e32 v20, v20, v21
	v_and_b32_e32 v21, v19, v1
	v_lshlrev_b32_e32 v1, 24, v18
	v_cmp_gt_i64_e32 vcc, 0, v[0:1]
	v_not_b32_e32 v1, v1
	v_ashrrev_i32_e32 v1, 31, v1
	v_xor_b32_e32 v18, vcc_hi, v1
	v_xor_b32_e32 v1, vcc_lo, v1
	v_and_b32_e32 v19, v20, v18
	v_and_b32_e32 v18, v21, v1
	v_mbcnt_lo_u32_b32 v1, v18, 0
	v_mbcnt_hi_u32_b32 v1, v19, v1
	v_cmp_eq_u32_e32 vcc, 0, v1
	v_cmp_ne_u64_e64 s[14:15], 0, v[18:19]
	v_pk_mov_b32 v[12:13], v[24:25], v[24:25] op_sel:[0,1]
	s_and_b64 s[24:25], s[14:15], vcc
	ds_write2_b32 v27, v0, v0 offset0:1 offset1:2
	ds_write2_b32 v28, v0, v0 offset0:2 offset1:3
	s_waitcnt lgkmcnt(0)
	; wave barrier
	s_waitcnt lgkmcnt(0)
	; wave barrier
	s_and_saveexec_b64 s[14:15], s[24:25]
	s_cbranch_execz .LBB54_5
; %bb.4:                                ;   in Loop: Header=BB54_3 Depth=1
	v_bcnt_u32_b32 v18, v18, 0
	v_bcnt_u32_b32 v18, v19, v18
	ds_write_b32 v22, v18
.LBB54_5:                               ;   in Loop: Header=BB54_3 Depth=1
	s_or_b64 exec, exec, s[14:15]
	; wave barrier
	s_waitcnt lgkmcnt(0)
	; wave barrier
	s_waitcnt lgkmcnt(0)
	ds_read2_b32 v[20:21], v27 offset0:1 offset1:2
	ds_read2_b32 v[18:19], v28 offset0:2 offset1:3
	s_waitcnt lgkmcnt(1)
	v_add_u32_e32 v23, v21, v20
	s_waitcnt lgkmcnt(0)
	v_add3_u32 v19, v23, v18, v19
	s_nop 1
	v_mov_b32_dpp v23, v19 row_shr:1 row_mask:0xf bank_mask:0xf
	v_cndmask_b32_e64 v23, v23, 0, s[0:1]
	v_add_u32_e32 v19, v23, v19
	s_nop 1
	v_mov_b32_dpp v23, v19 row_shr:2 row_mask:0xf bank_mask:0xf
	v_cndmask_b32_e64 v23, 0, v23, s[2:3]
	v_add_u32_e32 v19, v19, v23
	s_nop 1
	v_mov_b32_dpp v23, v19 row_shr:4 row_mask:0xf bank_mask:0xf
	v_cndmask_b32_e64 v23, 0, v23, s[4:5]
	v_add_u32_e32 v19, v19, v23
	s_nop 1
	v_mov_b32_dpp v23, v19 row_shr:8 row_mask:0xf bank_mask:0xf
	v_cndmask_b32_e64 v23, 0, v23, s[6:7]
	v_add_u32_e32 v19, v19, v23
	s_nop 1
	v_mov_b32_dpp v23, v19 row_bcast:15 row_mask:0xf bank_mask:0xf
	v_cndmask_b32_e64 v23, v23, 0, s[8:9]
	v_add_u32_e32 v19, v19, v23
	s_nop 1
	v_mov_b32_dpp v23, v19 row_bcast:31 row_mask:0xf bank_mask:0xf
	v_cndmask_b32_e64 v23, 0, v23, s[10:11]
	v_add_u32_e32 v19, v19, v23
	s_and_saveexec_b64 s[14:15], s[12:13]
	s_cbranch_execz .LBB54_7
; %bb.6:                                ;   in Loop: Header=BB54_3 Depth=1
	ds_write_b32 v0, v19
.LBB54_7:                               ;   in Loop: Header=BB54_3 Depth=1
	s_or_b64 exec, exec, s[14:15]
	ds_bpermute_b32 v19, v30, v19
	s_waitcnt lgkmcnt(0)
	; wave barrier
	s_waitcnt lgkmcnt(0)
	s_add_i32 s22, s22, 8
	v_lshlrev_b32_e32 v1, 4, v1
	v_cndmask_b32_e64 v19, v19, 0, s[16:17]
	v_add_u32_e32 v20, v19, v20
	v_add_u32_e32 v21, v20, v21
	;; [unrolled: 1-line block ×3, first 2 shown]
	ds_write2_b32 v27, v19, v20 offset0:1 offset1:2
	ds_write2_b32 v28, v21, v18 offset0:2 offset1:3
	s_waitcnt lgkmcnt(0)
	; wave barrier
	s_waitcnt lgkmcnt(0)
	ds_read_b32 v18, v22
	s_cmp_ge_u32 s22, s23
	s_waitcnt lgkmcnt(0)
	v_lshl_add_u32 v1, v18, 4, v1
	s_cbranch_scc0 .LBB54_2
; %bb.8:
                                        ; implicit-def: $vgpr18_vgpr19
                                        ; implicit-def: $vgpr22_vgpr23
                                        ; implicit-def: $sgpr19
.LBB54_9:
	v_lshlrev_b32_e32 v20, 4, v26
	; wave barrier
	ds_write_b128 v1, v[14:17]
	s_waitcnt lgkmcnt(0)
	; wave barrier
	s_waitcnt lgkmcnt(0)
	ds_read_b128 v[14:17], v20
	s_waitcnt lgkmcnt(0)
	; wave barrier
	s_waitcnt lgkmcnt(0)
	ds_write_b128 v1, v[10:13]
	s_waitcnt lgkmcnt(0)
	; wave barrier
	s_mov_b64 s[14:15], 0
	s_branch .LBB54_11
.LBB54_10:
	s_mov_b64 s[14:15], -1
                                        ; implicit-def: $vgpr20
                                        ; implicit-def: $vgpr14_vgpr15
.LBB54_11:
	v_add_co_u32_e32 v0, vcc, s18, v27
	v_addc_co_u32_e32 v1, vcc, 0, v33, vcc
	v_add_co_u32_e32 v18, vcc, s20, v27
	v_addc_co_u32_e32 v19, vcc, 0, v32, vcc
	s_and_b64 vcc, exec, s[14:15]
	s_cbranch_vccz .LBB54_21
; %bb.12:
	s_mov_b32 s18, 0
	v_mov_b32_e32 v20, 0
	s_branch .LBB54_14
.LBB54_13:                              ;   in Loop: Header=BB54_14 Depth=1
	v_lshlrev_b32_e32 v6, 4, v21
	s_waitcnt lgkmcnt(0)
	; wave barrier
	ds_write_b128 v6, v[14:17]
	s_waitcnt lgkmcnt(0)
	; wave barrier
	s_waitcnt lgkmcnt(0)
	ds_read_b128 v[2:5], v31
	s_waitcnt lgkmcnt(0)
	; wave barrier
	s_waitcnt lgkmcnt(0)
	ds_write_b128 v6, v[10:13]
	s_waitcnt lgkmcnt(0)
	; wave barrier
	s_waitcnt lgkmcnt(0)
	ds_read_b128 v[6:9], v31
	s_add_i32 s18, s18, 8
	s_waitcnt lgkmcnt(0)
	; wave barrier
	s_waitcnt lgkmcnt(0)
	s_cbranch_execz .LBB54_20
.LBB54_14:                              ; =>This Inner Loop Header: Depth=1
	s_waitcnt vmcnt(1)
	v_pk_mov_b32 v[16:17], v[4:5], v[4:5] op_sel:[0,1]
	s_sub_i32 s14, 64, s18
	v_pk_mov_b32 v[14:15], v[2:3], v[2:3] op_sel:[0,1]
	v_lshlrev_b64 v[4:5], s14, v[16:17]
	s_sub_i32 s14, s18, 64
	v_lshrrev_b64 v[2:3], s18, v[14:15]
	s_cmp_lt_u32 s18, 64
	v_or_b32_e32 v4, v2, v4
	v_lshrrev_b64 v[2:3], s14, v[16:17]
	s_cselect_b64 vcc, -1, 0
	s_cmp_eq_u32 s18, 0
	v_cndmask_b32_e32 v2, v2, v4, vcc
	s_cselect_b64 vcc, -1, 0
	v_cndmask_b32_e32 v2, v2, v14, vcc
	v_add_u32_sdwa v3, v2, v29 dst_sel:DWORD dst_unused:UNUSED_PAD src0_sel:BYTE_0 src1_sel:DWORD
	s_waitcnt vmcnt(0)
	v_pk_mov_b32 v[10:11], v[6:7], v[6:7] op_sel:[0,1]
	v_lshl_add_u32 v6, v3, 2, 4
	v_and_b32_e32 v3, 1, v2
	v_add_co_u32_e32 v4, vcc, -1, v3
	v_addc_co_u32_e64 v5, s[14:15], 0, -1, vcc
	v_cmp_ne_u32_e32 vcc, 0, v3
	v_lshlrev_b32_e32 v21, 30, v2
	v_xor_b32_e32 v3, vcc_hi, v5
	v_not_b32_e32 v5, v21
	v_xor_b32_e32 v4, vcc_lo, v4
	v_cmp_gt_i64_e32 vcc, 0, v[20:21]
	v_ashrrev_i32_e32 v5, 31, v5
	v_and_b32_e32 v4, exec_lo, v4
	v_xor_b32_e32 v7, vcc_hi, v5
	v_xor_b32_e32 v5, vcc_lo, v5
	v_lshlrev_b32_e32 v21, 29, v2
	v_and_b32_e32 v4, v4, v5
	v_not_b32_e32 v5, v21
	v_and_b32_e32 v3, exec_hi, v3
	v_cmp_gt_i64_e32 vcc, 0, v[20:21]
	v_ashrrev_i32_e32 v5, 31, v5
	v_and_b32_e32 v3, v3, v7
	v_xor_b32_e32 v7, vcc_hi, v5
	v_xor_b32_e32 v5, vcc_lo, v5
	v_lshlrev_b32_e32 v21, 28, v2
	v_and_b32_e32 v4, v4, v5
	v_not_b32_e32 v5, v21
	v_cmp_gt_i64_e32 vcc, 0, v[20:21]
	v_ashrrev_i32_e32 v5, 31, v5
	v_and_b32_e32 v3, v3, v7
	v_xor_b32_e32 v7, vcc_hi, v5
	v_xor_b32_e32 v5, vcc_lo, v5
	v_lshlrev_b32_e32 v21, 27, v2
	v_and_b32_e32 v4, v4, v5
	v_not_b32_e32 v5, v21
	;; [unrolled: 8-line block ×3, first 2 shown]
	v_cmp_gt_i64_e32 vcc, 0, v[20:21]
	v_ashrrev_i32_e32 v5, 31, v5
	v_and_b32_e32 v3, v3, v7
	v_xor_b32_e32 v7, vcc_hi, v5
	v_xor_b32_e32 v5, vcc_lo, v5
	v_lshlrev_b32_e32 v21, 25, v2
	v_and_b32_e32 v4, v4, v5
	v_cmp_gt_i64_e32 vcc, 0, v[20:21]
	v_not_b32_e32 v5, v21
	v_lshlrev_b32_e32 v21, 24, v2
	v_ashrrev_i32_e32 v5, 31, v5
	v_not_b32_e32 v2, v21
	v_and_b32_e32 v3, v3, v7
	v_xor_b32_e32 v7, vcc_hi, v5
	v_xor_b32_e32 v5, vcc_lo, v5
	v_cmp_gt_i64_e32 vcc, 0, v[20:21]
	v_ashrrev_i32_e32 v2, 31, v2
	v_and_b32_e32 v4, v4, v5
	v_xor_b32_e32 v5, vcc_hi, v2
	v_xor_b32_e32 v2, vcc_lo, v2
	v_and_b32_e32 v3, v3, v7
	v_and_b32_e32 v2, v4, v2
	;; [unrolled: 1-line block ×3, first 2 shown]
	v_mbcnt_lo_u32_b32 v4, v2, 0
	v_mbcnt_hi_u32_b32 v7, v3, v4
	v_cmp_eq_u32_e32 vcc, 0, v7
	v_cmp_ne_u64_e64 s[14:15], 0, v[2:3]
	v_pk_mov_b32 v[12:13], v[8:9], v[8:9] op_sel:[0,1]
	s_and_b64 s[20:21], s[14:15], vcc
	ds_write2_b32 v27, v20, v20 offset0:1 offset1:2
	ds_write2_b32 v28, v20, v20 offset0:2 offset1:3
	s_waitcnt lgkmcnt(0)
	; wave barrier
	s_waitcnt lgkmcnt(0)
	; wave barrier
	s_and_saveexec_b64 s[14:15], s[20:21]
	s_cbranch_execz .LBB54_16
; %bb.15:                               ;   in Loop: Header=BB54_14 Depth=1
	v_bcnt_u32_b32 v2, v2, 0
	v_bcnt_u32_b32 v2, v3, v2
	ds_write_b32 v6, v2
.LBB54_16:                              ;   in Loop: Header=BB54_14 Depth=1
	s_or_b64 exec, exec, s[14:15]
	; wave barrier
	s_waitcnt lgkmcnt(0)
	; wave barrier
	s_waitcnt lgkmcnt(0)
	ds_read2_b32 v[4:5], v27 offset0:1 offset1:2
	ds_read2_b32 v[2:3], v28 offset0:2 offset1:3
	s_waitcnt lgkmcnt(1)
	v_add_u32_e32 v8, v5, v4
	s_waitcnt lgkmcnt(0)
	v_add3_u32 v3, v8, v2, v3
	s_nop 1
	v_mov_b32_dpp v8, v3 row_shr:1 row_mask:0xf bank_mask:0xf
	v_cndmask_b32_e64 v8, v8, 0, s[0:1]
	v_add_u32_e32 v3, v8, v3
	s_nop 1
	v_mov_b32_dpp v8, v3 row_shr:2 row_mask:0xf bank_mask:0xf
	v_cndmask_b32_e64 v8, 0, v8, s[2:3]
	v_add_u32_e32 v3, v3, v8
	;; [unrolled: 4-line block ×4, first 2 shown]
	s_nop 1
	v_mov_b32_dpp v8, v3 row_bcast:15 row_mask:0xf bank_mask:0xf
	v_cndmask_b32_e64 v8, v8, 0, s[8:9]
	v_add_u32_e32 v3, v3, v8
	s_nop 1
	v_mov_b32_dpp v8, v3 row_bcast:31 row_mask:0xf bank_mask:0xf
	v_cndmask_b32_e64 v8, 0, v8, s[10:11]
	v_add_u32_e32 v3, v3, v8
	s_and_saveexec_b64 s[14:15], s[12:13]
	s_cbranch_execz .LBB54_18
; %bb.17:                               ;   in Loop: Header=BB54_14 Depth=1
	ds_write_b32 v20, v3
.LBB54_18:                              ;   in Loop: Header=BB54_14 Depth=1
	s_or_b64 exec, exec, s[14:15]
	ds_bpermute_b32 v3, v30, v3
	s_waitcnt lgkmcnt(0)
	; wave barrier
	s_waitcnt lgkmcnt(0)
	s_cmpk_gt_u32 s18, 0x77
	v_cndmask_b32_e64 v3, v3, 0, s[16:17]
	v_add_u32_e32 v4, v3, v4
	v_add_u32_e32 v5, v4, v5
	;; [unrolled: 1-line block ×3, first 2 shown]
	ds_write2_b32 v27, v3, v4 offset0:1 offset1:2
	ds_write2_b32 v28, v5, v2 offset0:2 offset1:3
	s_waitcnt lgkmcnt(0)
	; wave barrier
	s_waitcnt lgkmcnt(0)
	ds_read_b32 v2, v6
	s_waitcnt lgkmcnt(0)
	v_add_u32_e32 v21, v2, v7
	s_cbranch_scc0 .LBB54_13
; %bb.19:
                                        ; implicit-def: $sgpr18
                                        ; implicit-def: $vgpr2_vgpr3
                                        ; implicit-def: $vgpr6_vgpr7
.LBB54_20:
	v_lshlrev_b32_e32 v2, 4, v21
	s_waitcnt lgkmcnt(0)
	; wave barrier
	ds_write_b128 v2, v[14:17]
	s_waitcnt lgkmcnt(0)
	; wave barrier
	s_waitcnt lgkmcnt(0)
	ds_read_b128 v[14:17], v27
	s_waitcnt lgkmcnt(0)
	; wave barrier
	s_waitcnt lgkmcnt(0)
	ds_write_b128 v2, v[10:13]
	s_waitcnt lgkmcnt(0)
	; wave barrier
	v_mov_b32_e32 v20, v27
.LBB54_21:
	s_waitcnt vmcnt(1) lgkmcnt(0)
	ds_read_b128 v[2:5], v20
	global_store_dwordx4 v[0:1], v[14:17], off
	s_waitcnt lgkmcnt(0)
	global_store_dwordx4 v[18:19], v[2:5], off
	s_endpgm
	.section	.rodata,"a",@progbits
	.p2align	6, 0x0
	.amdhsa_kernel _Z21sort_key_value_kernelILj64ELj1ELb0ELb0EooEvPT3_PT4_jj
		.amdhsa_group_segment_fixed_size 1040
		.amdhsa_private_segment_fixed_size 0
		.amdhsa_kernarg_size 280
		.amdhsa_user_sgpr_count 6
		.amdhsa_user_sgpr_private_segment_buffer 1
		.amdhsa_user_sgpr_dispatch_ptr 0
		.amdhsa_user_sgpr_queue_ptr 0
		.amdhsa_user_sgpr_kernarg_segment_ptr 1
		.amdhsa_user_sgpr_dispatch_id 0
		.amdhsa_user_sgpr_flat_scratch_init 0
		.amdhsa_user_sgpr_kernarg_preload_length 0
		.amdhsa_user_sgpr_kernarg_preload_offset 0
		.amdhsa_user_sgpr_private_segment_size 0
		.amdhsa_uses_dynamic_stack 0
		.amdhsa_system_sgpr_private_segment_wavefront_offset 0
		.amdhsa_system_sgpr_workgroup_id_x 1
		.amdhsa_system_sgpr_workgroup_id_y 0
		.amdhsa_system_sgpr_workgroup_id_z 0
		.amdhsa_system_sgpr_workgroup_info 0
		.amdhsa_system_vgpr_workitem_id 2
		.amdhsa_next_free_vgpr 34
		.amdhsa_next_free_sgpr 26
		.amdhsa_accum_offset 36
		.amdhsa_reserve_vcc 1
		.amdhsa_reserve_flat_scratch 0
		.amdhsa_float_round_mode_32 0
		.amdhsa_float_round_mode_16_64 0
		.amdhsa_float_denorm_mode_32 3
		.amdhsa_float_denorm_mode_16_64 3
		.amdhsa_dx10_clamp 1
		.amdhsa_ieee_mode 1
		.amdhsa_fp16_overflow 0
		.amdhsa_tg_split 0
		.amdhsa_exception_fp_ieee_invalid_op 0
		.amdhsa_exception_fp_denorm_src 0
		.amdhsa_exception_fp_ieee_div_zero 0
		.amdhsa_exception_fp_ieee_overflow 0
		.amdhsa_exception_fp_ieee_underflow 0
		.amdhsa_exception_fp_ieee_inexact 0
		.amdhsa_exception_int_div_zero 0
	.end_amdhsa_kernel
	.section	.text._Z21sort_key_value_kernelILj64ELj1ELb0ELb0EooEvPT3_PT4_jj,"axG",@progbits,_Z21sort_key_value_kernelILj64ELj1ELb0ELb0EooEvPT3_PT4_jj,comdat
.Lfunc_end54:
	.size	_Z21sort_key_value_kernelILj64ELj1ELb0ELb0EooEvPT3_PT4_jj, .Lfunc_end54-_Z21sort_key_value_kernelILj64ELj1ELb0ELb0EooEvPT3_PT4_jj
                                        ; -- End function
	.section	.AMDGPU.csdata,"",@progbits
; Kernel info:
; codeLenInByte = 2216
; NumSgprs: 30
; NumVgprs: 34
; NumAgprs: 0
; TotalNumVgprs: 34
; ScratchSize: 0
; MemoryBound: 0
; FloatMode: 240
; IeeeMode: 1
; LDSByteSize: 1040 bytes/workgroup (compile time only)
; SGPRBlocks: 3
; VGPRBlocks: 4
; NumSGPRsForWavesPerEU: 30
; NumVGPRsForWavesPerEU: 34
; AccumOffset: 36
; Occupancy: 8
; WaveLimiterHint : 0
; COMPUTE_PGM_RSRC2:SCRATCH_EN: 0
; COMPUTE_PGM_RSRC2:USER_SGPR: 6
; COMPUTE_PGM_RSRC2:TRAP_HANDLER: 0
; COMPUTE_PGM_RSRC2:TGID_X_EN: 1
; COMPUTE_PGM_RSRC2:TGID_Y_EN: 0
; COMPUTE_PGM_RSRC2:TGID_Z_EN: 0
; COMPUTE_PGM_RSRC2:TIDIG_COMP_CNT: 2
; COMPUTE_PGM_RSRC3_GFX90A:ACCUM_OFFSET: 8
; COMPUTE_PGM_RSRC3_GFX90A:TG_SPLIT: 0
	.section	.text._Z21sort_key_value_kernelILj64ELj1ELb0ELb0EnnEvPT3_PT4_jj,"axG",@progbits,_Z21sort_key_value_kernelILj64ELj1ELb0ELb0EnnEvPT3_PT4_jj,comdat
	.protected	_Z21sort_key_value_kernelILj64ELj1ELb0ELb0EnnEvPT3_PT4_jj ; -- Begin function _Z21sort_key_value_kernelILj64ELj1ELb0ELb0EnnEvPT3_PT4_jj
	.globl	_Z21sort_key_value_kernelILj64ELj1ELb0ELb0EnnEvPT3_PT4_jj
	.p2align	8
	.type	_Z21sort_key_value_kernelILj64ELj1ELb0ELb0EnnEvPT3_PT4_jj,@function
_Z21sort_key_value_kernelILj64ELj1ELb0ELb0EnnEvPT3_PT4_jj: ; @_Z21sort_key_value_kernelILj64ELj1ELb0ELb0EnnEvPT3_PT4_jj
; %bb.0:
	s_load_dwordx4 s[0:3], s[4:5], 0x0
	s_load_dwordx2 s[22:23], s[4:5], 0x10
	s_lshl_b32 s6, s6, 6
	s_mov_b32 s7, 0
	s_lshl_b64 s[6:7], s[6:7], 4
	s_waitcnt lgkmcnt(0)
	s_add_u32 s18, s0, s6
	v_and_b32_e32 v26, 0x3ff, v0
	s_addc_u32 s19, s1, s7
	v_lshlrev_b32_e32 v27, 4, v26
	s_add_u32 s20, s2, s6
	global_load_dwordx4 v[2:5], v27, s[18:19]
	s_addc_u32 s21, s3, s7
	global_load_dwordx4 v[6:9], v27, s[20:21]
	s_load_dword s28, s[4:5], 0x24
	v_mbcnt_lo_u32_b32 v1, -1, 0
	v_mbcnt_hi_u32_b32 v1, -1, v1
	s_cmp_eq_u32 s22, 0
	v_add_u32_e32 v13, -1, v1
	v_and_b32_e32 v14, 64, v1
	s_cselect_b64 s[24:25], -1, 0
	s_cmpk_eq_i32 s23, 0x80
	v_bfe_u32 v10, v0, 10, 10
	v_bfe_u32 v0, v0, 20, 10
	v_cmp_lt_i32_e64 s[16:17], v13, v14
	v_mov_b32_e32 v33, s19
	s_cselect_b64 s[26:27], -1, 0
	s_waitcnt lgkmcnt(0)
	s_lshr_b32 s19, s28, 16
	v_and_b32_e32 v11, 15, v1
	v_and_b32_e32 v12, 16, v1
	v_cmp_lt_u32_e64 s[0:1], 31, v1
	v_cmp_eq_u32_e32 vcc, 0, v1
	v_cmp_eq_u32_e64 s[14:15], 0, v26
	v_lshlrev_b32_e32 v28, 4, v1
	v_cndmask_b32_e64 v1, v13, v1, s[16:17]
	v_mov_b32_e32 v32, s21
	s_and_b32 s21, s28, 0xffff
	v_mad_u32_u24 v0, v0, s19, v10
	v_lshlrev_b32_e32 v30, 2, v1
	s_or_b64 s[16:17], s[14:15], vcc
	s_and_b64 s[14:15], s[24:25], s[26:27]
	v_mad_u64_u32 v[0:1], s[24:25], v0, s21, v[26:27]
	v_cmp_eq_u32_e64 s[2:3], 63, v26
	v_or_b32_e32 v29, 4, v27
	v_cmp_eq_u32_e64 s[4:5], 0, v11
	v_cmp_lt_u32_e64 s[6:7], 1, v11
	v_cmp_lt_u32_e64 s[8:9], 3, v11
	;; [unrolled: 1-line block ×3, first 2 shown]
	v_cmp_eq_u32_e64 s[12:13], 0, v12
	s_and_b64 vcc, exec, s[14:15]
	v_lshrrev_b32_e32 v31, 6, v0
	s_waitcnt vmcnt(1)
	v_xor_b32_e32 v5, 0x80000000, v5
	s_cbranch_vccnz .LBB55_10
; %bb.1:
	s_sub_i32 s19, s23, s22
	v_mov_b32_e32 v0, 0
	s_waitcnt vmcnt(0)
	v_pk_mov_b32 v[22:23], v[6:7], v[6:7] op_sel:[0,1]
	v_pk_mov_b32 v[24:25], v[8:9], v[8:9] op_sel:[0,1]
	;; [unrolled: 1-line block ×4, first 2 shown]
	s_branch .LBB55_3
.LBB55_2:                               ;   in Loop: Header=BB55_3 Depth=1
	; wave barrier
	ds_write_b128 v1, v[14:17]
	s_waitcnt lgkmcnt(0)
	; wave barrier
	s_waitcnt lgkmcnt(0)
	ds_read_b128 v[18:21], v28
	s_waitcnt lgkmcnt(0)
	; wave barrier
	s_waitcnt lgkmcnt(0)
	ds_write_b128 v1, v[10:13]
	s_waitcnt lgkmcnt(0)
	; wave barrier
	s_waitcnt lgkmcnt(0)
	ds_read_b128 v[22:25], v28
	s_add_i32 s19, s19, -8
	s_waitcnt lgkmcnt(0)
	; wave barrier
	s_waitcnt lgkmcnt(0)
	s_cbranch_execz .LBB55_9
.LBB55_3:                               ; =>This Inner Loop Header: Depth=1
	v_pk_mov_b32 v[16:17], v[20:21], v[20:21] op_sel:[0,1]
	s_sub_i32 s15, 64, s22
	v_pk_mov_b32 v[14:15], v[18:19], v[18:19] op_sel:[0,1]
	s_min_u32 s14, s19, 8
	v_lshlrev_b64 v[20:21], s15, v[16:17]
	s_sub_i32 s15, s22, 64
	v_lshrrev_b64 v[18:19], s22, v[14:15]
	s_cmp_lt_u32 s22, 64
	v_or_b32_e32 v1, v18, v20
	v_lshrrev_b64 v[18:19], s15, v[16:17]
	s_cselect_b64 vcc, -1, 0
	s_cmp_eq_u32 s22, 0
	v_cndmask_b32_e32 v1, v18, v1, vcc
	s_cselect_b64 vcc, -1, 0
	v_cndmask_b32_e32 v1, v1, v14, vcc
	v_bfe_u32 v18, v1, 0, s14
	v_add_u32_e32 v1, v18, v31
	v_pk_mov_b32 v[10:11], v[22:23], v[22:23] op_sel:[0,1]
	v_lshl_add_u32 v22, v1, 2, 4
	v_and_b32_e32 v1, 1, v18
	v_add_co_u32_e32 v19, vcc, -1, v1
	v_addc_co_u32_e64 v20, s[14:15], 0, -1, vcc
	v_cmp_ne_u32_e32 vcc, 0, v1
	v_xor_b32_e32 v1, vcc_hi, v20
	v_and_b32_e32 v20, exec_hi, v1
	v_lshlrev_b32_e32 v1, 30, v18
	v_xor_b32_e32 v19, vcc_lo, v19
	v_cmp_gt_i64_e32 vcc, 0, v[0:1]
	v_not_b32_e32 v1, v1
	v_ashrrev_i32_e32 v1, 31, v1
	v_and_b32_e32 v19, exec_lo, v19
	v_xor_b32_e32 v21, vcc_hi, v1
	v_xor_b32_e32 v1, vcc_lo, v1
	v_and_b32_e32 v19, v19, v1
	v_lshlrev_b32_e32 v1, 29, v18
	v_cmp_gt_i64_e32 vcc, 0, v[0:1]
	v_not_b32_e32 v1, v1
	v_ashrrev_i32_e32 v1, 31, v1
	v_and_b32_e32 v20, v20, v21
	v_xor_b32_e32 v21, vcc_hi, v1
	v_xor_b32_e32 v1, vcc_lo, v1
	v_and_b32_e32 v19, v19, v1
	v_lshlrev_b32_e32 v1, 28, v18
	v_cmp_gt_i64_e32 vcc, 0, v[0:1]
	v_not_b32_e32 v1, v1
	v_ashrrev_i32_e32 v1, 31, v1
	v_and_b32_e32 v20, v20, v21
	v_xor_b32_e32 v21, vcc_hi, v1
	v_xor_b32_e32 v1, vcc_lo, v1
	v_and_b32_e32 v19, v19, v1
	v_lshlrev_b32_e32 v1, 27, v18
	v_cmp_gt_i64_e32 vcc, 0, v[0:1]
	v_not_b32_e32 v1, v1
	v_ashrrev_i32_e32 v1, 31, v1
	v_and_b32_e32 v20, v20, v21
	v_xor_b32_e32 v21, vcc_hi, v1
	v_xor_b32_e32 v1, vcc_lo, v1
	v_and_b32_e32 v19, v19, v1
	v_lshlrev_b32_e32 v1, 26, v18
	v_cmp_gt_i64_e32 vcc, 0, v[0:1]
	v_not_b32_e32 v1, v1
	v_ashrrev_i32_e32 v1, 31, v1
	v_and_b32_e32 v20, v20, v21
	v_xor_b32_e32 v21, vcc_hi, v1
	v_xor_b32_e32 v1, vcc_lo, v1
	v_and_b32_e32 v19, v19, v1
	v_lshlrev_b32_e32 v1, 25, v18
	v_cmp_gt_i64_e32 vcc, 0, v[0:1]
	v_not_b32_e32 v1, v1
	v_ashrrev_i32_e32 v1, 31, v1
	v_and_b32_e32 v20, v20, v21
	v_xor_b32_e32 v21, vcc_hi, v1
	v_xor_b32_e32 v1, vcc_lo, v1
	v_and_b32_e32 v20, v20, v21
	v_and_b32_e32 v21, v19, v1
	v_lshlrev_b32_e32 v1, 24, v18
	v_cmp_gt_i64_e32 vcc, 0, v[0:1]
	v_not_b32_e32 v1, v1
	v_ashrrev_i32_e32 v1, 31, v1
	v_xor_b32_e32 v18, vcc_hi, v1
	v_xor_b32_e32 v1, vcc_lo, v1
	v_and_b32_e32 v19, v20, v18
	v_and_b32_e32 v18, v21, v1
	v_mbcnt_lo_u32_b32 v1, v18, 0
	v_mbcnt_hi_u32_b32 v1, v19, v1
	v_cmp_eq_u32_e32 vcc, 0, v1
	v_cmp_ne_u64_e64 s[14:15], 0, v[18:19]
	v_pk_mov_b32 v[12:13], v[24:25], v[24:25] op_sel:[0,1]
	s_and_b64 s[24:25], s[14:15], vcc
	ds_write2_b32 v27, v0, v0 offset0:1 offset1:2
	ds_write2_b32 v29, v0, v0 offset0:2 offset1:3
	s_waitcnt lgkmcnt(0)
	; wave barrier
	s_waitcnt lgkmcnt(0)
	; wave barrier
	s_and_saveexec_b64 s[14:15], s[24:25]
	s_cbranch_execz .LBB55_5
; %bb.4:                                ;   in Loop: Header=BB55_3 Depth=1
	v_bcnt_u32_b32 v18, v18, 0
	v_bcnt_u32_b32 v18, v19, v18
	ds_write_b32 v22, v18
.LBB55_5:                               ;   in Loop: Header=BB55_3 Depth=1
	s_or_b64 exec, exec, s[14:15]
	; wave barrier
	s_waitcnt lgkmcnt(0)
	; wave barrier
	s_waitcnt lgkmcnt(0)
	ds_read2_b32 v[20:21], v27 offset0:1 offset1:2
	ds_read2_b32 v[18:19], v29 offset0:2 offset1:3
	s_waitcnt lgkmcnt(1)
	v_add_u32_e32 v23, v21, v20
	s_waitcnt lgkmcnt(0)
	v_add3_u32 v19, v23, v18, v19
	s_nop 1
	v_mov_b32_dpp v23, v19 row_shr:1 row_mask:0xf bank_mask:0xf
	v_cndmask_b32_e64 v23, v23, 0, s[4:5]
	v_add_u32_e32 v19, v23, v19
	s_nop 1
	v_mov_b32_dpp v23, v19 row_shr:2 row_mask:0xf bank_mask:0xf
	v_cndmask_b32_e64 v23, 0, v23, s[6:7]
	v_add_u32_e32 v19, v19, v23
	;; [unrolled: 4-line block ×4, first 2 shown]
	s_nop 1
	v_mov_b32_dpp v23, v19 row_bcast:15 row_mask:0xf bank_mask:0xf
	v_cndmask_b32_e64 v23, v23, 0, s[12:13]
	v_add_u32_e32 v19, v19, v23
	s_nop 1
	v_mov_b32_dpp v23, v19 row_bcast:31 row_mask:0xf bank_mask:0xf
	v_cndmask_b32_e64 v23, 0, v23, s[0:1]
	v_add_u32_e32 v19, v19, v23
	s_and_saveexec_b64 s[14:15], s[2:3]
	s_cbranch_execz .LBB55_7
; %bb.6:                                ;   in Loop: Header=BB55_3 Depth=1
	ds_write_b32 v0, v19
.LBB55_7:                               ;   in Loop: Header=BB55_3 Depth=1
	s_or_b64 exec, exec, s[14:15]
	ds_bpermute_b32 v19, v30, v19
	s_waitcnt lgkmcnt(0)
	; wave barrier
	s_waitcnt lgkmcnt(0)
	s_add_i32 s22, s22, 8
	v_lshlrev_b32_e32 v1, 4, v1
	v_cndmask_b32_e64 v19, v19, 0, s[16:17]
	v_add_u32_e32 v20, v19, v20
	v_add_u32_e32 v21, v20, v21
	;; [unrolled: 1-line block ×3, first 2 shown]
	ds_write2_b32 v27, v19, v20 offset0:1 offset1:2
	ds_write2_b32 v29, v21, v18 offset0:2 offset1:3
	s_waitcnt lgkmcnt(0)
	; wave barrier
	s_waitcnt lgkmcnt(0)
	ds_read_b32 v18, v22
	s_cmp_ge_u32 s22, s23
	s_waitcnt lgkmcnt(0)
	v_lshl_add_u32 v1, v18, 4, v1
	s_cbranch_scc0 .LBB55_2
; %bb.8:
                                        ; implicit-def: $vgpr18_vgpr19
                                        ; implicit-def: $vgpr22_vgpr23
                                        ; implicit-def: $sgpr19
.LBB55_9:
	v_lshlrev_b32_e32 v20, 4, v26
	; wave barrier
	ds_write_b128 v1, v[14:17]
	s_waitcnt lgkmcnt(0)
	; wave barrier
	s_waitcnt lgkmcnt(0)
	ds_read_b128 v[14:17], v20
	s_waitcnt lgkmcnt(0)
	; wave barrier
	s_waitcnt lgkmcnt(0)
	ds_write_b128 v1, v[10:13]
	s_waitcnt lgkmcnt(0)
	; wave barrier
	s_mov_b64 s[14:15], 0
	s_branch .LBB55_11
.LBB55_10:
	s_mov_b64 s[14:15], -1
                                        ; implicit-def: $vgpr20
                                        ; implicit-def: $vgpr14_vgpr15
.LBB55_11:
	v_add_co_u32_e32 v0, vcc, s18, v27
	v_addc_co_u32_e32 v1, vcc, 0, v33, vcc
	v_add_co_u32_e32 v18, vcc, s20, v27
	v_addc_co_u32_e32 v19, vcc, 0, v32, vcc
	s_and_b64 vcc, exec, s[14:15]
	s_cbranch_vccz .LBB55_21
; %bb.12:
	s_mov_b32 s18, 0
	v_mov_b32_e32 v20, 0
	s_branch .LBB55_14
.LBB55_13:                              ;   in Loop: Header=BB55_14 Depth=1
	v_lshlrev_b32_e32 v6, 4, v21
	s_waitcnt lgkmcnt(0)
	; wave barrier
	ds_write_b128 v6, v[14:17]
	s_waitcnt lgkmcnt(0)
	; wave barrier
	s_waitcnt lgkmcnt(0)
	ds_read_b128 v[2:5], v28
	s_waitcnt lgkmcnt(0)
	; wave barrier
	s_waitcnt lgkmcnt(0)
	ds_write_b128 v6, v[10:13]
	s_waitcnt lgkmcnt(0)
	; wave barrier
	s_waitcnt lgkmcnt(0)
	ds_read_b128 v[6:9], v28
	s_add_i32 s18, s18, 8
	s_waitcnt lgkmcnt(0)
	; wave barrier
	s_waitcnt lgkmcnt(0)
	s_cbranch_execz .LBB55_20
.LBB55_14:                              ; =>This Inner Loop Header: Depth=1
	v_pk_mov_b32 v[16:17], v[4:5], v[4:5] op_sel:[0,1]
	s_sub_i32 s14, 64, s18
	v_pk_mov_b32 v[14:15], v[2:3], v[2:3] op_sel:[0,1]
	v_lshlrev_b64 v[4:5], s14, v[16:17]
	s_sub_i32 s14, s18, 64
	v_lshrrev_b64 v[2:3], s18, v[14:15]
	s_cmp_lt_u32 s18, 64
	v_or_b32_e32 v4, v2, v4
	v_lshrrev_b64 v[2:3], s14, v[16:17]
	s_cselect_b64 vcc, -1, 0
	s_cmp_eq_u32 s18, 0
	v_cndmask_b32_e32 v2, v2, v4, vcc
	s_cselect_b64 vcc, -1, 0
	v_cndmask_b32_e32 v2, v2, v14, vcc
	v_add_u32_sdwa v3, v2, v31 dst_sel:DWORD dst_unused:UNUSED_PAD src0_sel:BYTE_0 src1_sel:DWORD
	s_waitcnt vmcnt(0)
	v_pk_mov_b32 v[10:11], v[6:7], v[6:7] op_sel:[0,1]
	v_lshl_add_u32 v6, v3, 2, 4
	v_and_b32_e32 v3, 1, v2
	v_add_co_u32_e32 v4, vcc, -1, v3
	v_addc_co_u32_e64 v5, s[14:15], 0, -1, vcc
	v_cmp_ne_u32_e32 vcc, 0, v3
	v_lshlrev_b32_e32 v21, 30, v2
	v_xor_b32_e32 v3, vcc_hi, v5
	v_not_b32_e32 v5, v21
	v_xor_b32_e32 v4, vcc_lo, v4
	v_cmp_gt_i64_e32 vcc, 0, v[20:21]
	v_ashrrev_i32_e32 v5, 31, v5
	v_and_b32_e32 v4, exec_lo, v4
	v_xor_b32_e32 v7, vcc_hi, v5
	v_xor_b32_e32 v5, vcc_lo, v5
	v_lshlrev_b32_e32 v21, 29, v2
	v_and_b32_e32 v4, v4, v5
	v_not_b32_e32 v5, v21
	v_and_b32_e32 v3, exec_hi, v3
	v_cmp_gt_i64_e32 vcc, 0, v[20:21]
	v_ashrrev_i32_e32 v5, 31, v5
	v_and_b32_e32 v3, v3, v7
	v_xor_b32_e32 v7, vcc_hi, v5
	v_xor_b32_e32 v5, vcc_lo, v5
	v_lshlrev_b32_e32 v21, 28, v2
	v_and_b32_e32 v4, v4, v5
	v_not_b32_e32 v5, v21
	v_cmp_gt_i64_e32 vcc, 0, v[20:21]
	v_ashrrev_i32_e32 v5, 31, v5
	v_and_b32_e32 v3, v3, v7
	v_xor_b32_e32 v7, vcc_hi, v5
	v_xor_b32_e32 v5, vcc_lo, v5
	v_lshlrev_b32_e32 v21, 27, v2
	v_and_b32_e32 v4, v4, v5
	v_not_b32_e32 v5, v21
	;; [unrolled: 8-line block ×3, first 2 shown]
	v_cmp_gt_i64_e32 vcc, 0, v[20:21]
	v_ashrrev_i32_e32 v5, 31, v5
	v_and_b32_e32 v3, v3, v7
	v_xor_b32_e32 v7, vcc_hi, v5
	v_xor_b32_e32 v5, vcc_lo, v5
	v_lshlrev_b32_e32 v21, 25, v2
	v_and_b32_e32 v4, v4, v5
	v_cmp_gt_i64_e32 vcc, 0, v[20:21]
	v_not_b32_e32 v5, v21
	v_lshlrev_b32_e32 v21, 24, v2
	v_ashrrev_i32_e32 v5, 31, v5
	v_not_b32_e32 v2, v21
	v_and_b32_e32 v3, v3, v7
	v_xor_b32_e32 v7, vcc_hi, v5
	v_xor_b32_e32 v5, vcc_lo, v5
	v_cmp_gt_i64_e32 vcc, 0, v[20:21]
	v_ashrrev_i32_e32 v2, 31, v2
	v_and_b32_e32 v4, v4, v5
	v_xor_b32_e32 v5, vcc_hi, v2
	v_xor_b32_e32 v2, vcc_lo, v2
	v_and_b32_e32 v3, v3, v7
	v_and_b32_e32 v2, v4, v2
	;; [unrolled: 1-line block ×3, first 2 shown]
	v_mbcnt_lo_u32_b32 v4, v2, 0
	v_mbcnt_hi_u32_b32 v7, v3, v4
	v_cmp_eq_u32_e32 vcc, 0, v7
	v_cmp_ne_u64_e64 s[14:15], 0, v[2:3]
	v_pk_mov_b32 v[12:13], v[8:9], v[8:9] op_sel:[0,1]
	s_and_b64 s[20:21], s[14:15], vcc
	ds_write2_b32 v27, v20, v20 offset0:1 offset1:2
	ds_write2_b32 v29, v20, v20 offset0:2 offset1:3
	s_waitcnt lgkmcnt(0)
	; wave barrier
	s_waitcnt lgkmcnt(0)
	; wave barrier
	s_and_saveexec_b64 s[14:15], s[20:21]
	s_cbranch_execz .LBB55_16
; %bb.15:                               ;   in Loop: Header=BB55_14 Depth=1
	v_bcnt_u32_b32 v2, v2, 0
	v_bcnt_u32_b32 v2, v3, v2
	ds_write_b32 v6, v2
.LBB55_16:                              ;   in Loop: Header=BB55_14 Depth=1
	s_or_b64 exec, exec, s[14:15]
	; wave barrier
	s_waitcnt lgkmcnt(0)
	; wave barrier
	s_waitcnt lgkmcnt(0)
	ds_read2_b32 v[4:5], v27 offset0:1 offset1:2
	ds_read2_b32 v[2:3], v29 offset0:2 offset1:3
	s_waitcnt lgkmcnt(1)
	v_add_u32_e32 v8, v5, v4
	s_waitcnt lgkmcnt(0)
	v_add3_u32 v3, v8, v2, v3
	s_nop 1
	v_mov_b32_dpp v8, v3 row_shr:1 row_mask:0xf bank_mask:0xf
	v_cndmask_b32_e64 v8, v8, 0, s[4:5]
	v_add_u32_e32 v3, v8, v3
	s_nop 1
	v_mov_b32_dpp v8, v3 row_shr:2 row_mask:0xf bank_mask:0xf
	v_cndmask_b32_e64 v8, 0, v8, s[6:7]
	v_add_u32_e32 v3, v3, v8
	;; [unrolled: 4-line block ×4, first 2 shown]
	s_nop 1
	v_mov_b32_dpp v8, v3 row_bcast:15 row_mask:0xf bank_mask:0xf
	v_cndmask_b32_e64 v8, v8, 0, s[12:13]
	v_add_u32_e32 v3, v3, v8
	s_nop 1
	v_mov_b32_dpp v8, v3 row_bcast:31 row_mask:0xf bank_mask:0xf
	v_cndmask_b32_e64 v8, 0, v8, s[0:1]
	v_add_u32_e32 v3, v3, v8
	s_and_saveexec_b64 s[14:15], s[2:3]
	s_cbranch_execz .LBB55_18
; %bb.17:                               ;   in Loop: Header=BB55_14 Depth=1
	ds_write_b32 v20, v3
.LBB55_18:                              ;   in Loop: Header=BB55_14 Depth=1
	s_or_b64 exec, exec, s[14:15]
	ds_bpermute_b32 v3, v30, v3
	s_waitcnt lgkmcnt(0)
	; wave barrier
	s_waitcnt lgkmcnt(0)
	s_cmpk_gt_u32 s18, 0x77
	v_cndmask_b32_e64 v3, v3, 0, s[16:17]
	v_add_u32_e32 v4, v3, v4
	v_add_u32_e32 v5, v4, v5
	;; [unrolled: 1-line block ×3, first 2 shown]
	ds_write2_b32 v27, v3, v4 offset0:1 offset1:2
	ds_write2_b32 v29, v5, v2 offset0:2 offset1:3
	s_waitcnt lgkmcnt(0)
	; wave barrier
	s_waitcnt lgkmcnt(0)
	ds_read_b32 v2, v6
	s_waitcnt lgkmcnt(0)
	v_add_u32_e32 v21, v2, v7
	s_cbranch_scc0 .LBB55_13
; %bb.19:
                                        ; implicit-def: $sgpr18
                                        ; implicit-def: $vgpr2_vgpr3
                                        ; implicit-def: $vgpr6_vgpr7
.LBB55_20:
	v_lshlrev_b32_e32 v2, 4, v21
	s_waitcnt lgkmcnt(0)
	; wave barrier
	ds_write_b128 v2, v[14:17]
	s_waitcnt lgkmcnt(0)
	; wave barrier
	s_waitcnt lgkmcnt(0)
	ds_read_b128 v[14:17], v27
	s_waitcnt lgkmcnt(0)
	; wave barrier
	s_waitcnt lgkmcnt(0)
	ds_write_b128 v2, v[10:13]
	s_waitcnt lgkmcnt(0)
	; wave barrier
	v_mov_b32_e32 v20, v27
.LBB55_21:
	s_waitcnt lgkmcnt(0)
	ds_read_b128 v[2:5], v20
	v_xor_b32_e32 v17, 0x80000000, v17
	global_store_dwordx4 v[0:1], v[14:17], off
	s_waitcnt lgkmcnt(0)
	global_store_dwordx4 v[18:19], v[2:5], off
	s_endpgm
	.section	.rodata,"a",@progbits
	.p2align	6, 0x0
	.amdhsa_kernel _Z21sort_key_value_kernelILj64ELj1ELb0ELb0EnnEvPT3_PT4_jj
		.amdhsa_group_segment_fixed_size 1040
		.amdhsa_private_segment_fixed_size 0
		.amdhsa_kernarg_size 280
		.amdhsa_user_sgpr_count 6
		.amdhsa_user_sgpr_private_segment_buffer 1
		.amdhsa_user_sgpr_dispatch_ptr 0
		.amdhsa_user_sgpr_queue_ptr 0
		.amdhsa_user_sgpr_kernarg_segment_ptr 1
		.amdhsa_user_sgpr_dispatch_id 0
		.amdhsa_user_sgpr_flat_scratch_init 0
		.amdhsa_user_sgpr_kernarg_preload_length 0
		.amdhsa_user_sgpr_kernarg_preload_offset 0
		.amdhsa_user_sgpr_private_segment_size 0
		.amdhsa_uses_dynamic_stack 0
		.amdhsa_system_sgpr_private_segment_wavefront_offset 0
		.amdhsa_system_sgpr_workgroup_id_x 1
		.amdhsa_system_sgpr_workgroup_id_y 0
		.amdhsa_system_sgpr_workgroup_id_z 0
		.amdhsa_system_sgpr_workgroup_info 0
		.amdhsa_system_vgpr_workitem_id 2
		.amdhsa_next_free_vgpr 34
		.amdhsa_next_free_sgpr 29
		.amdhsa_accum_offset 36
		.amdhsa_reserve_vcc 1
		.amdhsa_reserve_flat_scratch 0
		.amdhsa_float_round_mode_32 0
		.amdhsa_float_round_mode_16_64 0
		.amdhsa_float_denorm_mode_32 3
		.amdhsa_float_denorm_mode_16_64 3
		.amdhsa_dx10_clamp 1
		.amdhsa_ieee_mode 1
		.amdhsa_fp16_overflow 0
		.amdhsa_tg_split 0
		.amdhsa_exception_fp_ieee_invalid_op 0
		.amdhsa_exception_fp_denorm_src 0
		.amdhsa_exception_fp_ieee_div_zero 0
		.amdhsa_exception_fp_ieee_overflow 0
		.amdhsa_exception_fp_ieee_underflow 0
		.amdhsa_exception_fp_ieee_inexact 0
		.amdhsa_exception_int_div_zero 0
	.end_amdhsa_kernel
	.section	.text._Z21sort_key_value_kernelILj64ELj1ELb0ELb0EnnEvPT3_PT4_jj,"axG",@progbits,_Z21sort_key_value_kernelILj64ELj1ELb0ELb0EnnEvPT3_PT4_jj,comdat
.Lfunc_end55:
	.size	_Z21sort_key_value_kernelILj64ELj1ELb0ELb0EnnEvPT3_PT4_jj, .Lfunc_end55-_Z21sort_key_value_kernelILj64ELj1ELb0ELb0EnnEvPT3_PT4_jj
                                        ; -- End function
	.section	.AMDGPU.csdata,"",@progbits
; Kernel info:
; codeLenInByte = 2240
; NumSgprs: 33
; NumVgprs: 34
; NumAgprs: 0
; TotalNumVgprs: 34
; ScratchSize: 0
; MemoryBound: 0
; FloatMode: 240
; IeeeMode: 1
; LDSByteSize: 1040 bytes/workgroup (compile time only)
; SGPRBlocks: 4
; VGPRBlocks: 4
; NumSGPRsForWavesPerEU: 33
; NumVGPRsForWavesPerEU: 34
; AccumOffset: 36
; Occupancy: 8
; WaveLimiterHint : 0
; COMPUTE_PGM_RSRC2:SCRATCH_EN: 0
; COMPUTE_PGM_RSRC2:USER_SGPR: 6
; COMPUTE_PGM_RSRC2:TRAP_HANDLER: 0
; COMPUTE_PGM_RSRC2:TGID_X_EN: 1
; COMPUTE_PGM_RSRC2:TGID_Y_EN: 0
; COMPUTE_PGM_RSRC2:TGID_Z_EN: 0
; COMPUTE_PGM_RSRC2:TIDIG_COMP_CNT: 2
; COMPUTE_PGM_RSRC3_GFX90A:ACCUM_OFFSET: 8
; COMPUTE_PGM_RSRC3_GFX90A:TG_SPLIT: 0
	.text
	.p2alignl 6, 3212836864
	.fill 256, 4, 3212836864
	.type	__hip_cuid_b6ecd127d999989c,@object ; @__hip_cuid_b6ecd127d999989c
	.section	.bss,"aw",@nobits
	.globl	__hip_cuid_b6ecd127d999989c
__hip_cuid_b6ecd127d999989c:
	.byte	0                               ; 0x0
	.size	__hip_cuid_b6ecd127d999989c, 1

	.ident	"AMD clang version 19.0.0git (https://github.com/RadeonOpenCompute/llvm-project roc-6.4.0 25133 c7fe45cf4b819c5991fe208aaa96edf142730f1d)"
	.section	".note.GNU-stack","",@progbits
	.addrsig
	.addrsig_sym __hip_cuid_b6ecd127d999989c
	.amdgpu_metadata
---
amdhsa.kernels:
  - .agpr_count:     0
    .args:
      - .address_space:  global
        .offset:         0
        .size:           8
        .value_kind:     global_buffer
      - .offset:         8
        .size:           4
        .value_kind:     by_value
      - .offset:         12
        .size:           4
        .value_kind:     by_value
    .group_segment_fixed_size: 8176
    .kernarg_segment_align: 8
    .kernarg_segment_size: 16
    .language:       OpenCL C
    .language_version:
      - 2
      - 0
    .max_flat_workgroup_size: 255
    .name:           _Z15sort_key_kernelILj255ELj1ELb1ELb0EN10test_utils16custom_test_typeIhEEEvPT3_jj
    .private_segment_fixed_size: 0
    .sgpr_count:     40
    .sgpr_spill_count: 0
    .symbol:         _Z15sort_key_kernelILj255ELj1ELb1ELb0EN10test_utils16custom_test_typeIhEEEvPT3_jj.kd
    .uniform_work_group_size: 1
    .uses_dynamic_stack: false
    .vgpr_count:     33
    .vgpr_spill_count: 0
    .wavefront_size: 64
  - .agpr_count:     0
    .args:
      - .address_space:  global
        .offset:         0
        .size:           8
        .value_kind:     global_buffer
      - .offset:         8
        .size:           4
        .value_kind:     by_value
      - .offset:         12
        .size:           4
        .value_kind:     by_value
    .group_segment_fixed_size: 4144
    .kernarg_segment_align: 8
    .kernarg_segment_size: 16
    .language:       OpenCL C
    .language_version:
      - 2
      - 0
    .max_flat_workgroup_size: 129
    .name:           _Z15sort_key_kernelILj129ELj2ELb0ELb1EN10test_utils16custom_test_typeIfEEEvPT3_jj
    .private_segment_fixed_size: 0
    .sgpr_count:     47
    .sgpr_spill_count: 0
    .symbol:         _Z15sort_key_kernelILj129ELj2ELb0ELb1EN10test_utils16custom_test_typeIfEEEvPT3_jj.kd
    .uniform_work_group_size: 1
    .uses_dynamic_stack: false
    .vgpr_count:     40
    .vgpr_spill_count: 0
    .wavefront_size: 64
  - .agpr_count:     0
    .args:
      - .address_space:  global
        .offset:         0
        .size:           8
        .value_kind:     global_buffer
      - .offset:         8
        .size:           4
        .value_kind:     by_value
      - .offset:         12
        .size:           4
        .value_kind:     by_value
      - .offset:         16
        .size:           4
        .value_kind:     hidden_block_count_x
      - .offset:         20
        .size:           4
        .value_kind:     hidden_block_count_y
      - .offset:         24
        .size:           4
        .value_kind:     hidden_block_count_z
      - .offset:         28
        .size:           2
        .value_kind:     hidden_group_size_x
      - .offset:         30
        .size:           2
        .value_kind:     hidden_group_size_y
      - .offset:         32
        .size:           2
        .value_kind:     hidden_group_size_z
      - .offset:         34
        .size:           2
        .value_kind:     hidden_remainder_x
      - .offset:         36
        .size:           2
        .value_kind:     hidden_remainder_y
      - .offset:         38
        .size:           2
        .value_kind:     hidden_remainder_z
      - .offset:         56
        .size:           8
        .value_kind:     hidden_global_offset_x
      - .offset:         64
        .size:           8
        .value_kind:     hidden_global_offset_y
      - .offset:         72
        .size:           8
        .value_kind:     hidden_global_offset_z
      - .offset:         80
        .size:           2
        .value_kind:     hidden_grid_dims
    .group_segment_fixed_size: 2064
    .kernarg_segment_align: 8
    .kernarg_segment_size: 272
    .language:       OpenCL C
    .language_version:
      - 2
      - 0
    .max_flat_workgroup_size: 128
    .name:           _Z15sort_key_kernelILj128ELj4ELb0ELb0EN10test_utils16custom_test_typeIsEEEvPT3_jj
    .private_segment_fixed_size: 0
    .sgpr_count:     60
    .sgpr_spill_count: 0
    .symbol:         _Z15sort_key_kernelILj128ELj4ELb0ELb0EN10test_utils16custom_test_typeIsEEEvPT3_jj.kd
    .uniform_work_group_size: 1
    .uses_dynamic_stack: false
    .vgpr_count:     51
    .vgpr_spill_count: 0
    .wavefront_size: 64
  - .agpr_count:     0
    .args:
      - .address_space:  global
        .offset:         0
        .size:           8
        .value_kind:     global_buffer
      - .offset:         8
        .size:           4
        .value_kind:     by_value
      - .offset:         12
        .size:           4
        .value_kind:     by_value
    .group_segment_fixed_size: 1936
    .kernarg_segment_align: 8
    .kernarg_segment_size: 16
    .language:       OpenCL C
    .language_version:
      - 2
      - 0
    .max_flat_workgroup_size: 60
    .name:           _Z15sort_key_kernelILj60ELj1ELb0ELb1EtEvPT3_jj
    .private_segment_fixed_size: 0
    .sgpr_count:     43
    .sgpr_spill_count: 0
    .symbol:         _Z15sort_key_kernelILj60ELj1ELb0ELb1EtEvPT3_jj.kd
    .uniform_work_group_size: 1
    .uses_dynamic_stack: false
    .vgpr_count:     28
    .vgpr_spill_count: 0
    .wavefront_size: 64
  - .agpr_count:     0
    .args:
      - .address_space:  global
        .offset:         0
        .size:           8
        .value_kind:     global_buffer
      - .offset:         8
        .size:           4
        .value_kind:     by_value
      - .offset:         12
        .size:           4
        .value_kind:     by_value
      - .offset:         16
        .size:           4
        .value_kind:     hidden_block_count_x
      - .offset:         20
        .size:           4
        .value_kind:     hidden_block_count_y
      - .offset:         24
        .size:           4
        .value_kind:     hidden_block_count_z
      - .offset:         28
        .size:           2
        .value_kind:     hidden_group_size_x
      - .offset:         30
        .size:           2
        .value_kind:     hidden_group_size_y
      - .offset:         32
        .size:           2
        .value_kind:     hidden_group_size_z
      - .offset:         34
        .size:           2
        .value_kind:     hidden_remainder_x
      - .offset:         36
        .size:           2
        .value_kind:     hidden_remainder_y
      - .offset:         38
        .size:           2
        .value_kind:     hidden_remainder_z
      - .offset:         56
        .size:           8
        .value_kind:     hidden_global_offset_x
      - .offset:         64
        .size:           8
        .value_kind:     hidden_global_offset_y
      - .offset:         72
        .size:           8
        .value_kind:     hidden_global_offset_z
      - .offset:         80
        .size:           2
        .value_kind:     hidden_grid_dims
    .group_segment_fixed_size: 8224
    .kernarg_segment_align: 8
    .kernarg_segment_size: 272
    .language:       OpenCL C
    .language_version:
      - 2
      - 0
    .max_flat_workgroup_size: 512
    .name:           _Z15sort_key_kernelILj512ELj2ELb1ELb0EhEvPT3_jj
    .private_segment_fixed_size: 0
    .sgpr_count:     48
    .sgpr_spill_count: 0
    .symbol:         _Z15sort_key_kernelILj512ELj2ELb1ELb0EhEvPT3_jj.kd
    .uniform_work_group_size: 1
    .uses_dynamic_stack: false
    .vgpr_count:     38
    .vgpr_spill_count: 0
    .wavefront_size: 64
  - .agpr_count:     0
    .args:
      - .address_space:  global
        .offset:         0
        .size:           8
        .value_kind:     global_buffer
      - .offset:         8
        .size:           4
        .value_kind:     by_value
      - .offset:         12
        .size:           4
        .value_kind:     by_value
    .group_segment_fixed_size: 5200
    .kernarg_segment_align: 8
    .kernarg_segment_size: 16
    .language:       OpenCL C
    .language_version:
      - 2
      - 0
    .max_flat_workgroup_size: 162
    .name:           _Z15sort_key_kernelILj162ELj2ELb1ELb1EjEvPT3_jj
    .private_segment_fixed_size: 0
    .sgpr_count:     40
    .sgpr_spill_count: 0
    .symbol:         _Z15sort_key_kernelILj162ELj2ELb1ELb1EjEvPT3_jj.kd
    .uniform_work_group_size: 1
    .uses_dynamic_stack: false
    .vgpr_count:     30
    .vgpr_spill_count: 0
    .wavefront_size: 64
  - .agpr_count:     0
    .args:
      - .address_space:  global
        .offset:         0
        .size:           8
        .value_kind:     global_buffer
      - .offset:         8
        .size:           4
        .value_kind:     by_value
      - .offset:         12
        .size:           4
        .value_kind:     by_value
    .group_segment_fixed_size: 3280
    .kernarg_segment_align: 8
    .kernarg_segment_size: 16
    .language:       OpenCL C
    .language_version:
      - 2
      - 0
    .max_flat_workgroup_size: 102
    .name:           _Z15sort_key_kernelILj102ELj3ELb0ELb1EtEvPT3_jj
    .private_segment_fixed_size: 0
    .sgpr_count:     49
    .sgpr_spill_count: 0
    .symbol:         _Z15sort_key_kernelILj102ELj3ELb0ELb1EtEvPT3_jj.kd
    .uniform_work_group_size: 1
    .uses_dynamic_stack: false
    .vgpr_count:     39
    .vgpr_spill_count: 0
    .wavefront_size: 64
  - .agpr_count:     0
    .args:
      - .address_space:  global
        .offset:         0
        .size:           8
        .value_kind:     global_buffer
      - .offset:         8
        .size:           4
        .value_kind:     by_value
      - .offset:         12
        .size:           4
        .value_kind:     by_value
      - .offset:         16
        .size:           4
        .value_kind:     hidden_block_count_x
      - .offset:         20
        .size:           4
        .value_kind:     hidden_block_count_y
      - .offset:         24
        .size:           4
        .value_kind:     hidden_block_count_z
      - .offset:         28
        .size:           2
        .value_kind:     hidden_group_size_x
      - .offset:         30
        .size:           2
        .value_kind:     hidden_group_size_y
      - .offset:         32
        .size:           2
        .value_kind:     hidden_group_size_z
      - .offset:         34
        .size:           2
        .value_kind:     hidden_remainder_x
      - .offset:         36
        .size:           2
        .value_kind:     hidden_remainder_y
      - .offset:         38
        .size:           2
        .value_kind:     hidden_remainder_z
      - .offset:         56
        .size:           8
        .value_kind:     hidden_global_offset_x
      - .offset:         64
        .size:           8
        .value_kind:     hidden_global_offset_y
      - .offset:         72
        .size:           8
        .value_kind:     hidden_global_offset_z
      - .offset:         80
        .size:           2
        .value_kind:     hidden_grid_dims
    .group_segment_fixed_size: 1040
    .kernarg_segment_align: 8
    .kernarg_segment_size: 272
    .language:       OpenCL C
    .language_version:
      - 2
      - 0
    .max_flat_workgroup_size: 64
    .name:           _Z15sort_key_kernelILj64ELj1ELb0ELb0EyEvPT3_jj
    .private_segment_fixed_size: 0
    .sgpr_count:     28
    .sgpr_spill_count: 0
    .symbol:         _Z15sort_key_kernelILj64ELj1ELb0ELb0EyEvPT3_jj.kd
    .uniform_work_group_size: 1
    .uses_dynamic_stack: false
    .vgpr_count:     20
    .vgpr_spill_count: 0
    .wavefront_size: 64
  - .agpr_count:     0
    .args:
      - .address_space:  global
        .offset:         0
        .size:           8
        .value_kind:     global_buffer
      - .offset:         8
        .size:           4
        .value_kind:     by_value
      - .offset:         12
        .size:           4
        .value_kind:     by_value
    .group_segment_fixed_size: 7504
    .kernarg_segment_align: 8
    .kernarg_segment_size: 16
    .language:       OpenCL C
    .language_version:
      - 2
      - 0
    .max_flat_workgroup_size: 234
    .name:           _Z15sort_key_kernelILj234ELj9ELb0ELb0EsEvPT3_jj
    .private_segment_fixed_size: 0
    .sgpr_count:     38
    .sgpr_spill_count: 0
    .symbol:         _Z15sort_key_kernelILj234ELj9ELb0ELb0EsEvPT3_jj.kd
    .uniform_work_group_size: 1
    .uses_dynamic_stack: false
    .vgpr_count:     56
    .vgpr_spill_count: 0
    .wavefront_size: 64
  - .agpr_count:     0
    .args:
      - .address_space:  global
        .offset:         0
        .size:           8
        .value_kind:     global_buffer
      - .offset:         8
        .size:           4
        .value_kind:     by_value
      - .offset:         12
        .size:           4
        .value_kind:     by_value
    .group_segment_fixed_size: 3216
    .kernarg_segment_align: 8
    .kernarg_segment_size: 16
    .language:       OpenCL C
    .language_version:
      - 2
      - 0
    .max_flat_workgroup_size: 100
    .name:           _Z15sort_key_kernelILj100ELj3ELb0ELb0EtEvPT3_jj
    .private_segment_fixed_size: 0
    .sgpr_count:     49
    .sgpr_spill_count: 0
    .symbol:         _Z15sort_key_kernelILj100ELj3ELb0ELb0EtEvPT3_jj.kd
    .uniform_work_group_size: 1
    .uses_dynamic_stack: false
    .vgpr_count:     39
    .vgpr_spill_count: 0
    .wavefront_size: 64
  - .agpr_count:     0
    .args:
      - .address_space:  global
        .offset:         0
        .size:           8
        .value_kind:     global_buffer
      - .offset:         8
        .size:           4
        .value_kind:     by_value
      - .offset:         12
        .size:           4
        .value_kind:     by_value
    .group_segment_fixed_size: 14880
    .kernarg_segment_align: 8
    .kernarg_segment_size: 16
    .language:       OpenCL C
    .language_version:
      - 2
      - 0
    .max_flat_workgroup_size: 464
    .name:           _Z15sort_key_kernelILj464ELj2ELb1ELb1EcEvPT3_jj
    .private_segment_fixed_size: 0
    .sgpr_count:     42
    .sgpr_spill_count: 0
    .symbol:         _Z15sort_key_kernelILj464ELj2ELb1ELb1EcEvPT3_jj.kd
    .uniform_work_group_size: 1
    .uses_dynamic_stack: false
    .vgpr_count:     32
    .vgpr_spill_count: 0
    .wavefront_size: 64
  - .agpr_count:     0
    .args:
      - .address_space:  global
        .offset:         0
        .size:           8
        .value_kind:     global_buffer
      - .offset:         8
        .size:           4
        .value_kind:     by_value
      - .offset:         12
        .size:           4
        .value_kind:     by_value
    .group_segment_fixed_size: 1328
    .kernarg_segment_align: 8
    .kernarg_segment_size: 16
    .language:       OpenCL C
    .language_version:
      - 2
      - 0
    .max_flat_workgroup_size: 33
    .name:           _Z15sort_key_kernelILj33ELj5ELb0ELb0EdEvPT3_jj
    .private_segment_fixed_size: 0
    .sgpr_count:     45
    .sgpr_spill_count: 0
    .symbol:         _Z15sort_key_kernelILj33ELj5ELb0ELb0EdEvPT3_jj.kd
    .uniform_work_group_size: 1
    .uses_dynamic_stack: false
    .vgpr_count:     56
    .vgpr_spill_count: 0
    .wavefront_size: 64
  - .agpr_count:     0
    .args:
      - .address_space:  global
        .offset:         0
        .size:           8
        .value_kind:     global_buffer
      - .offset:         8
        .size:           4
        .value_kind:     by_value
      - .offset:         12
        .size:           4
        .value_kind:     by_value
      - .offset:         16
        .size:           4
        .value_kind:     hidden_block_count_x
      - .offset:         20
        .size:           4
        .value_kind:     hidden_block_count_y
      - .offset:         24
        .size:           4
        .value_kind:     hidden_block_count_z
      - .offset:         28
        .size:           2
        .value_kind:     hidden_group_size_x
      - .offset:         30
        .size:           2
        .value_kind:     hidden_group_size_y
      - .offset:         32
        .size:           2
        .value_kind:     hidden_group_size_z
      - .offset:         34
        .size:           2
        .value_kind:     hidden_remainder_x
      - .offset:         36
        .size:           2
        .value_kind:     hidden_remainder_y
      - .offset:         38
        .size:           2
        .value_kind:     hidden_remainder_z
      - .offset:         56
        .size:           8
        .value_kind:     hidden_global_offset_x
      - .offset:         64
        .size:           8
        .value_kind:     hidden_global_offset_y
      - .offset:         72
        .size:           8
        .value_kind:     hidden_global_offset_z
      - .offset:         80
        .size:           2
        .value_kind:     hidden_grid_dims
    .group_segment_fixed_size: 4112
    .kernarg_segment_align: 8
    .kernarg_segment_size: 272
    .language:       OpenCL C
    .language_version:
      - 2
      - 0
    .max_flat_workgroup_size: 256
    .name:           _Z15sort_key_kernelILj256ELj7ELb0ELb0EtEvPT3_jj
    .private_segment_fixed_size: 0
    .sgpr_count:     44
    .sgpr_spill_count: 0
    .symbol:         _Z15sort_key_kernelILj256ELj7ELb0ELb0EtEvPT3_jj.kd
    .uniform_work_group_size: 1
    .uses_dynamic_stack: false
    .vgpr_count:     58
    .vgpr_spill_count: 0
    .wavefront_size: 64
  - .agpr_count:     0
    .args:
      - .address_space:  global
        .offset:         0
        .size:           8
        .value_kind:     global_buffer
      - .offset:         8
        .size:           4
        .value_kind:     by_value
      - .offset:         12
        .size:           4
        .value_kind:     by_value
      - .offset:         16
        .size:           4
        .value_kind:     hidden_block_count_x
      - .offset:         20
        .size:           4
        .value_kind:     hidden_block_count_y
      - .offset:         24
        .size:           4
        .value_kind:     hidden_block_count_z
      - .offset:         28
        .size:           2
        .value_kind:     hidden_group_size_x
      - .offset:         30
        .size:           2
        .value_kind:     hidden_group_size_y
      - .offset:         32
        .size:           2
        .value_kind:     hidden_group_size_z
      - .offset:         34
        .size:           2
        .value_kind:     hidden_remainder_x
      - .offset:         36
        .size:           2
        .value_kind:     hidden_remainder_y
      - .offset:         38
        .size:           2
        .value_kind:     hidden_remainder_z
      - .offset:         56
        .size:           8
        .value_kind:     hidden_global_offset_x
      - .offset:         64
        .size:           8
        .value_kind:     hidden_global_offset_y
      - .offset:         72
        .size:           8
        .value_kind:     hidden_global_offset_z
      - .offset:         80
        .size:           2
        .value_kind:     hidden_grid_dims
    .group_segment_fixed_size: 2064
    .kernarg_segment_align: 8
    .kernarg_segment_size: 272
    .language:       OpenCL C
    .language_version:
      - 2
      - 0
    .max_flat_workgroup_size: 128
    .name:           _Z15sort_key_kernelILj128ELj4ELb0ELb0EiEvPT3_jj
    .private_segment_fixed_size: 0
    .sgpr_count:     46
    .sgpr_spill_count: 0
    .symbol:         _Z15sort_key_kernelILj128ELj4ELb0ELb0EiEvPT3_jj.kd
    .uniform_work_group_size: 1
    .uses_dynamic_stack: false
    .vgpr_count:     54
    .vgpr_spill_count: 0
    .wavefront_size: 64
  - .agpr_count:     0
    .args:
      - .address_space:  global
        .offset:         0
        .size:           8
        .value_kind:     global_buffer
      - .offset:         8
        .size:           4
        .value_kind:     by_value
      - .offset:         12
        .size:           4
        .value_kind:     by_value
      - .offset:         16
        .size:           4
        .value_kind:     hidden_block_count_x
      - .offset:         20
        .size:           4
        .value_kind:     hidden_block_count_y
      - .offset:         24
        .size:           4
        .value_kind:     hidden_block_count_z
      - .offset:         28
        .size:           2
        .value_kind:     hidden_group_size_x
      - .offset:         30
        .size:           2
        .value_kind:     hidden_group_size_y
      - .offset:         32
        .size:           2
        .value_kind:     hidden_group_size_z
      - .offset:         34
        .size:           2
        .value_kind:     hidden_remainder_x
      - .offset:         36
        .size:           2
        .value_kind:     hidden_remainder_y
      - .offset:         38
        .size:           2
        .value_kind:     hidden_remainder_z
      - .offset:         56
        .size:           8
        .value_kind:     hidden_global_offset_x
      - .offset:         64
        .size:           8
        .value_kind:     hidden_global_offset_y
      - .offset:         72
        .size:           8
        .value_kind:     hidden_global_offset_z
      - .offset:         80
        .size:           2
        .value_kind:     hidden_grid_dims
      - .offset:         96
        .size:           8
        .value_kind:     hidden_hostcall_buffer
      - .offset:         104
        .size:           8
        .value_kind:     hidden_multigrid_sync_arg
      - .offset:         112
        .size:           8
        .value_kind:     hidden_heap_v1
      - .offset:         120
        .size:           8
        .value_kind:     hidden_default_queue
      - .offset:         128
        .size:           8
        .value_kind:     hidden_completion_action
      - .offset:         216
        .size:           8
        .value_kind:     hidden_queue_ptr
    .group_segment_fixed_size: 1040
    .kernarg_segment_align: 8
    .kernarg_segment_size: 272
    .language:       OpenCL C
    .language_version:
      - 2
      - 0
    .max_flat_workgroup_size: 64
    .name:           _Z15sort_key_kernelILj64ELj2ELb0ELb1EfEvPT3_jj
    .private_segment_fixed_size: 0
    .sgpr_count:     36
    .sgpr_spill_count: 0
    .symbol:         _Z15sort_key_kernelILj64ELj2ELb0ELb1EfEvPT3_jj.kd
    .uniform_work_group_size: 1
    .uses_dynamic_stack: false
    .vgpr_count:     34
    .vgpr_spill_count: 0
    .wavefront_size: 64
  - .agpr_count:     0
    .args:
      - .address_space:  global
        .offset:         0
        .size:           8
        .value_kind:     global_buffer
      - .offset:         8
        .size:           4
        .value_kind:     by_value
      - .offset:         12
        .size:           4
        .value_kind:     by_value
    .group_segment_fixed_size: 8176
    .kernarg_segment_align: 8
    .kernarg_segment_size: 16
    .language:       OpenCL C
    .language_version:
      - 2
      - 0
    .max_flat_workgroup_size: 255
    .name:           _Z15sort_key_kernelILj255ELj1ELb0ELb0EhEvPT3_jj
    .private_segment_fixed_size: 0
    .sgpr_count:     40
    .sgpr_spill_count: 0
    .symbol:         _Z15sort_key_kernelILj255ELj1ELb0ELb0EhEvPT3_jj.kd
    .uniform_work_group_size: 1
    .uses_dynamic_stack: false
    .vgpr_count:     26
    .vgpr_spill_count: 0
    .wavefront_size: 64
  - .agpr_count:     0
    .args:
      - .address_space:  global
        .offset:         0
        .size:           8
        .value_kind:     global_buffer
      - .offset:         8
        .size:           4
        .value_kind:     by_value
      - .offset:         12
        .size:           4
        .value_kind:     by_value
    .group_segment_fixed_size: 5200
    .kernarg_segment_align: 8
    .kernarg_segment_size: 16
    .language:       OpenCL C
    .language_version:
      - 2
      - 0
    .max_flat_workgroup_size: 162
    .name:           _Z15sort_key_kernelILj162ELj1ELb1ELb0EjEvPT3_jj
    .private_segment_fixed_size: 0
    .sgpr_count:     38
    .sgpr_spill_count: 0
    .symbol:         _Z15sort_key_kernelILj162ELj1ELb1ELb0EjEvPT3_jj.kd
    .uniform_work_group_size: 1
    .uses_dynamic_stack: false
    .vgpr_count:     28
    .vgpr_spill_count: 0
    .wavefront_size: 64
  - .agpr_count:     0
    .args:
      - .address_space:  global
        .offset:         0
        .size:           8
        .value_kind:     global_buffer
      - .offset:         8
        .size:           4
        .value_kind:     by_value
      - .offset:         12
        .size:           4
        .value_kind:     by_value
    .group_segment_fixed_size: 16352
    .kernarg_segment_align: 8
    .kernarg_segment_size: 16
    .language:       OpenCL C
    .language_version:
      - 2
      - 0
    .max_flat_workgroup_size: 510
    .name:           _Z15sort_key_kernelILj510ELj1ELb0ELb1ExEvPT3_jj
    .private_segment_fixed_size: 0
    .sgpr_count:     40
    .sgpr_spill_count: 0
    .symbol:         _Z15sort_key_kernelILj510ELj1ELb0ELb1ExEvPT3_jj.kd
    .uniform_work_group_size: 1
    .uses_dynamic_stack: false
    .vgpr_count:     30
    .vgpr_spill_count: 0
    .wavefront_size: 64
  - .agpr_count:     0
    .args:
      - .address_space:  global
        .offset:         0
        .size:           8
        .value_kind:     global_buffer
      - .offset:         8
        .size:           4
        .value_kind:     by_value
      - .offset:         12
        .size:           4
        .value_kind:     by_value
    .group_segment_fixed_size: 1200
    .kernarg_segment_align: 8
    .kernarg_segment_size: 16
    .language:       OpenCL C
    .language_version:
      - 2
      - 0
    .max_flat_workgroup_size: 37
    .name:           _Z15sort_key_kernelILj37ELj1ELb0ELb0E6__halfEvPT3_jj
    .private_segment_fixed_size: 0
    .sgpr_count:     44
    .sgpr_spill_count: 0
    .symbol:         _Z15sort_key_kernelILj37ELj1ELb0ELb0E6__halfEvPT3_jj.kd
    .uniform_work_group_size: 1
    .uses_dynamic_stack: false
    .vgpr_count:     28
    .vgpr_spill_count: 0
    .wavefront_size: 64
  - .agpr_count:     0
    .args:
      - .address_space:  global
        .offset:         0
        .size:           8
        .value_kind:     global_buffer
      - .offset:         8
        .size:           4
        .value_kind:     by_value
      - .offset:         12
        .size:           4
        .value_kind:     by_value
    .group_segment_fixed_size: 1200
    .kernarg_segment_align: 8
    .kernarg_segment_size: 16
    .language:       OpenCL C
    .language_version:
      - 2
      - 0
    .max_flat_workgroup_size: 37
    .name:           _Z15sort_key_kernelILj37ELj1ELb0ELb0E12hip_bfloat16EvPT3_jj
    .private_segment_fixed_size: 0
    .sgpr_count:     44
    .sgpr_spill_count: 0
    .symbol:         _Z15sort_key_kernelILj37ELj1ELb0ELb0E12hip_bfloat16EvPT3_jj.kd
    .uniform_work_group_size: 1
    .uses_dynamic_stack: false
    .vgpr_count:     28
    .vgpr_spill_count: 0
    .wavefront_size: 64
  - .agpr_count:     0
    .args:
      - .address_space:  global
        .offset:         0
        .size:           8
        .value_kind:     global_buffer
      - .offset:         8
        .size:           4
        .value_kind:     by_value
      - .offset:         12
        .size:           4
        .value_kind:     by_value
    .group_segment_fixed_size: 1200
    .kernarg_segment_align: 8
    .kernarg_segment_size: 16
    .language:       OpenCL C
    .language_version:
      - 2
      - 0
    .max_flat_workgroup_size: 37
    .name:           _Z15sort_key_kernelILj37ELj1ELb0ELb0EfEvPT3_jj
    .private_segment_fixed_size: 0
    .sgpr_count:     44
    .sgpr_spill_count: 0
    .symbol:         _Z15sort_key_kernelILj37ELj1ELb0ELb0EfEvPT3_jj.kd
    .uniform_work_group_size: 1
    .uses_dynamic_stack: false
    .vgpr_count:     30
    .vgpr_spill_count: 0
    .wavefront_size: 64
  - .agpr_count:     0
    .args:
      - .address_space:  global
        .offset:         0
        .size:           8
        .value_kind:     global_buffer
      - .offset:         8
        .size:           4
        .value_kind:     by_value
      - .offset:         12
        .size:           4
        .value_kind:     by_value
    .group_segment_fixed_size: 2096
    .kernarg_segment_align: 8
    .kernarg_segment_size: 16
    .language:       OpenCL C
    .language_version:
      - 2
      - 0
    .max_flat_workgroup_size: 65
    .name:           _Z15sort_key_kernelILj65ELj1ELb0ELb0EdEvPT3_jj
    .private_segment_fixed_size: 0
    .sgpr_count:     51
    .sgpr_spill_count: 0
    .symbol:         _Z15sort_key_kernelILj65ELj1ELb0ELb0EdEvPT3_jj.kd
    .uniform_work_group_size: 1
    .uses_dynamic_stack: false
    .vgpr_count:     34
    .vgpr_spill_count: 0
    .wavefront_size: 64
  - .agpr_count:     0
    .args:
      - .address_space:  global
        .offset:         0
        .size:           8
        .value_kind:     global_buffer
      - .offset:         8
        .size:           4
        .value_kind:     by_value
      - .offset:         12
        .size:           4
        .value_kind:     by_value
      - .offset:         16
        .size:           4
        .value_kind:     hidden_block_count_x
      - .offset:         20
        .size:           4
        .value_kind:     hidden_block_count_y
      - .offset:         24
        .size:           4
        .value_kind:     hidden_block_count_z
      - .offset:         28
        .size:           2
        .value_kind:     hidden_group_size_x
      - .offset:         30
        .size:           2
        .value_kind:     hidden_group_size_y
      - .offset:         32
        .size:           2
        .value_kind:     hidden_group_size_z
      - .offset:         34
        .size:           2
        .value_kind:     hidden_remainder_x
      - .offset:         36
        .size:           2
        .value_kind:     hidden_remainder_y
      - .offset:         38
        .size:           2
        .value_kind:     hidden_remainder_z
      - .offset:         56
        .size:           8
        .value_kind:     hidden_global_offset_x
      - .offset:         64
        .size:           8
        .value_kind:     hidden_global_offset_y
      - .offset:         72
        .size:           8
        .value_kind:     hidden_global_offset_z
      - .offset:         80
        .size:           2
        .value_kind:     hidden_grid_dims
    .group_segment_fixed_size: 16448
    .kernarg_segment_align: 8
    .kernarg_segment_size: 272
    .language:       OpenCL C
    .language_version:
      - 2
      - 0
    .max_flat_workgroup_size: 1024
    .name:           _Z15sort_key_kernelILj1024ELj1ELb0ELb1EtEvPT3_jj
    .private_segment_fixed_size: 0
    .sgpr_count:     38
    .sgpr_spill_count: 0
    .symbol:         _Z15sort_key_kernelILj1024ELj1ELb0ELb1EtEvPT3_jj.kd
    .uniform_work_group_size: 1
    .uses_dynamic_stack: false
    .vgpr_count:     26
    .vgpr_spill_count: 0
    .wavefront_size: 64
  - .agpr_count:     0
    .args:
      - .address_space:  global
        .offset:         0
        .size:           8
        .value_kind:     global_buffer
      - .offset:         8
        .size:           4
        .value_kind:     by_value
      - .offset:         12
        .size:           4
        .value_kind:     by_value
      - .offset:         16
        .size:           4
        .value_kind:     hidden_block_count_x
      - .offset:         20
        .size:           4
        .value_kind:     hidden_block_count_y
      - .offset:         24
        .size:           4
        .value_kind:     hidden_block_count_z
      - .offset:         28
        .size:           2
        .value_kind:     hidden_group_size_x
      - .offset:         30
        .size:           2
        .value_kind:     hidden_group_size_y
      - .offset:         32
        .size:           2
        .value_kind:     hidden_group_size_z
      - .offset:         34
        .size:           2
        .value_kind:     hidden_remainder_x
      - .offset:         36
        .size:           2
        .value_kind:     hidden_remainder_y
      - .offset:         38
        .size:           2
        .value_kind:     hidden_remainder_z
      - .offset:         56
        .size:           8
        .value_kind:     hidden_global_offset_x
      - .offset:         64
        .size:           8
        .value_kind:     hidden_global_offset_y
      - .offset:         72
        .size:           8
        .value_kind:     hidden_global_offset_z
      - .offset:         80
        .size:           2
        .value_kind:     hidden_grid_dims
    .group_segment_fixed_size: 4112
    .kernarg_segment_align: 8
    .kernarg_segment_size: 272
    .language:       OpenCL C
    .language_version:
      - 2
      - 0
    .max_flat_workgroup_size: 256
    .name:           _Z15sort_key_kernelILj256ELj1ELb0ELb0EjEvPT3_jj
    .private_segment_fixed_size: 0
    .sgpr_count:     40
    .sgpr_spill_count: 0
    .symbol:         _Z15sort_key_kernelILj256ELj1ELb0ELb0EjEvPT3_jj.kd
    .uniform_work_group_size: 1
    .uses_dynamic_stack: false
    .vgpr_count:     24
    .vgpr_spill_count: 0
    .wavefront_size: 64
  - .agpr_count:     0
    .args:
      - .address_space:  global
        .offset:         0
        .size:           8
        .value_kind:     global_buffer
      - .offset:         8
        .size:           4
        .value_kind:     by_value
      - .offset:         12
        .size:           4
        .value_kind:     by_value
      - .offset:         16
        .size:           4
        .value_kind:     hidden_block_count_x
      - .offset:         20
        .size:           4
        .value_kind:     hidden_block_count_y
      - .offset:         24
        .size:           4
        .value_kind:     hidden_block_count_z
      - .offset:         28
        .size:           2
        .value_kind:     hidden_group_size_x
      - .offset:         30
        .size:           2
        .value_kind:     hidden_group_size_y
      - .offset:         32
        .size:           2
        .value_kind:     hidden_group_size_z
      - .offset:         34
        .size:           2
        .value_kind:     hidden_remainder_x
      - .offset:         36
        .size:           2
        .value_kind:     hidden_remainder_y
      - .offset:         38
        .size:           2
        .value_kind:     hidden_remainder_z
      - .offset:         56
        .size:           8
        .value_kind:     hidden_global_offset_x
      - .offset:         64
        .size:           8
        .value_kind:     hidden_global_offset_y
      - .offset:         72
        .size:           8
        .value_kind:     hidden_global_offset_z
      - .offset:         80
        .size:           2
        .value_kind:     hidden_grid_dims
    .group_segment_fixed_size: 2064
    .kernarg_segment_align: 8
    .kernarg_segment_size: 272
    .language:       OpenCL C
    .language_version:
      - 2
      - 0
    .max_flat_workgroup_size: 128
    .name:           _Z15sort_key_kernelILj128ELj1ELb0ELb0EiEvPT3_jj
    .private_segment_fixed_size: 0
    .sgpr_count:     40
    .sgpr_spill_count: 0
    .symbol:         _Z15sort_key_kernelILj128ELj1ELb0ELb0EiEvPT3_jj.kd
    .uniform_work_group_size: 1
    .uses_dynamic_stack: false
    .vgpr_count:     26
    .vgpr_spill_count: 0
    .wavefront_size: 64
  - .agpr_count:     0
    .args:
      - .address_space:  global
        .offset:         0
        .size:           8
        .value_kind:     global_buffer
      - .offset:         8
        .size:           4
        .value_kind:     by_value
      - .offset:         12
        .size:           4
        .value_kind:     by_value
      - .offset:         16
        .size:           4
        .value_kind:     hidden_block_count_x
      - .offset:         20
        .size:           4
        .value_kind:     hidden_block_count_y
      - .offset:         24
        .size:           4
        .value_kind:     hidden_block_count_z
      - .offset:         28
        .size:           2
        .value_kind:     hidden_group_size_x
      - .offset:         30
        .size:           2
        .value_kind:     hidden_group_size_y
      - .offset:         32
        .size:           2
        .value_kind:     hidden_group_size_z
      - .offset:         34
        .size:           2
        .value_kind:     hidden_remainder_x
      - .offset:         36
        .size:           2
        .value_kind:     hidden_remainder_y
      - .offset:         38
        .size:           2
        .value_kind:     hidden_remainder_z
      - .offset:         56
        .size:           8
        .value_kind:     hidden_global_offset_x
      - .offset:         64
        .size:           8
        .value_kind:     hidden_global_offset_y
      - .offset:         72
        .size:           8
        .value_kind:     hidden_global_offset_z
      - .offset:         80
        .size:           2
        .value_kind:     hidden_grid_dims
    .group_segment_fixed_size: 1040
    .kernarg_segment_align: 8
    .kernarg_segment_size: 272
    .language:       OpenCL C
    .language_version:
      - 2
      - 0
    .max_flat_workgroup_size: 64
    .name:           _Z15sort_key_kernelILj64ELj1ELb0ELb0EjEvPT3_jj
    .private_segment_fixed_size: 0
    .sgpr_count:     28
    .sgpr_spill_count: 0
    .symbol:         _Z15sort_key_kernelILj64ELj1ELb0ELb0EjEvPT3_jj.kd
    .uniform_work_group_size: 1
    .uses_dynamic_stack: false
    .vgpr_count:     18
    .vgpr_spill_count: 0
    .wavefront_size: 64
  - .agpr_count:     0
    .args:
      - .address_space:  global
        .offset:         0
        .size:           8
        .value_kind:     global_buffer
      - .offset:         8
        .size:           4
        .value_kind:     by_value
      - .offset:         12
        .size:           4
        .value_kind:     by_value
      - .offset:         16
        .size:           4
        .value_kind:     hidden_block_count_x
      - .offset:         20
        .size:           4
        .value_kind:     hidden_block_count_y
      - .offset:         24
        .size:           4
        .value_kind:     hidden_block_count_z
      - .offset:         28
        .size:           2
        .value_kind:     hidden_group_size_x
      - .offset:         30
        .size:           2
        .value_kind:     hidden_group_size_y
      - .offset:         32
        .size:           2
        .value_kind:     hidden_group_size_z
      - .offset:         34
        .size:           2
        .value_kind:     hidden_remainder_x
      - .offset:         36
        .size:           2
        .value_kind:     hidden_remainder_y
      - .offset:         38
        .size:           2
        .value_kind:     hidden_remainder_z
      - .offset:         56
        .size:           8
        .value_kind:     hidden_global_offset_x
      - .offset:         64
        .size:           8
        .value_kind:     hidden_global_offset_y
      - .offset:         72
        .size:           8
        .value_kind:     hidden_global_offset_z
      - .offset:         80
        .size:           2
        .value_kind:     hidden_grid_dims
    .group_segment_fixed_size: 1040
    .kernarg_segment_align: 8
    .kernarg_segment_size: 272
    .language:       OpenCL C
    .language_version:
      - 2
      - 0
    .max_flat_workgroup_size: 64
    .name:           _Z15sort_key_kernelILj64ELj1ELb0ELb0EoEvPT3_jj
    .private_segment_fixed_size: 0
    .sgpr_count:     28
    .sgpr_spill_count: 0
    .symbol:         _Z15sort_key_kernelILj64ELj1ELb0ELb0EoEvPT3_jj.kd
    .uniform_work_group_size: 1
    .uses_dynamic_stack: false
    .vgpr_count:     23
    .vgpr_spill_count: 0
    .wavefront_size: 64
  - .agpr_count:     0
    .args:
      - .address_space:  global
        .offset:         0
        .size:           8
        .value_kind:     global_buffer
      - .offset:         8
        .size:           4
        .value_kind:     by_value
      - .offset:         12
        .size:           4
        .value_kind:     by_value
      - .offset:         16
        .size:           4
        .value_kind:     hidden_block_count_x
      - .offset:         20
        .size:           4
        .value_kind:     hidden_block_count_y
      - .offset:         24
        .size:           4
        .value_kind:     hidden_block_count_z
      - .offset:         28
        .size:           2
        .value_kind:     hidden_group_size_x
      - .offset:         30
        .size:           2
        .value_kind:     hidden_group_size_y
      - .offset:         32
        .size:           2
        .value_kind:     hidden_group_size_z
      - .offset:         34
        .size:           2
        .value_kind:     hidden_remainder_x
      - .offset:         36
        .size:           2
        .value_kind:     hidden_remainder_y
      - .offset:         38
        .size:           2
        .value_kind:     hidden_remainder_z
      - .offset:         56
        .size:           8
        .value_kind:     hidden_global_offset_x
      - .offset:         64
        .size:           8
        .value_kind:     hidden_global_offset_y
      - .offset:         72
        .size:           8
        .value_kind:     hidden_global_offset_z
      - .offset:         80
        .size:           2
        .value_kind:     hidden_grid_dims
    .group_segment_fixed_size: 1040
    .kernarg_segment_align: 8
    .kernarg_segment_size: 272
    .language:       OpenCL C
    .language_version:
      - 2
      - 0
    .max_flat_workgroup_size: 64
    .name:           _Z15sort_key_kernelILj64ELj1ELb0ELb0EnEvPT3_jj
    .private_segment_fixed_size: 0
    .sgpr_count:     32
    .sgpr_spill_count: 0
    .symbol:         _Z15sort_key_kernelILj64ELj1ELb0ELb0EnEvPT3_jj.kd
    .uniform_work_group_size: 1
    .uses_dynamic_stack: false
    .vgpr_count:     23
    .vgpr_spill_count: 0
    .wavefront_size: 64
  - .agpr_count:     0
    .args:
      - .address_space:  global
        .offset:         0
        .size:           8
        .value_kind:     global_buffer
      - .address_space:  global
        .offset:         8
        .size:           8
        .value_kind:     global_buffer
      - .offset:         16
        .size:           4
        .value_kind:     by_value
      - .offset:         20
        .size:           4
        .value_kind:     by_value
    .group_segment_fixed_size: 8176
    .kernarg_segment_align: 8
    .kernarg_segment_size: 24
    .language:       OpenCL C
    .language_version:
      - 2
      - 0
    .max_flat_workgroup_size: 255
    .name:           _Z21sort_key_value_kernelILj255ELj1ELb1ELb0EN10test_utils16custom_test_typeIhEEfEvPT3_PT4_jj
    .private_segment_fixed_size: 0
    .sgpr_count:     42
    .sgpr_spill_count: 0
    .symbol:         _Z21sort_key_value_kernelILj255ELj1ELb1ELb0EN10test_utils16custom_test_typeIhEEfEvPT3_PT4_jj.kd
    .uniform_work_group_size: 1
    .uses_dynamic_stack: false
    .vgpr_count:     34
    .vgpr_spill_count: 0
    .wavefront_size: 64
  - .agpr_count:     0
    .args:
      - .address_space:  global
        .offset:         0
        .size:           8
        .value_kind:     global_buffer
      - .address_space:  global
        .offset:         8
        .size:           8
        .value_kind:     global_buffer
      - .offset:         16
        .size:           4
        .value_kind:     by_value
      - .offset:         20
        .size:           4
        .value_kind:     by_value
    .group_segment_fixed_size: 4144
    .kernarg_segment_align: 8
    .kernarg_segment_size: 24
    .language:       OpenCL C
    .language_version:
      - 2
      - 0
    .max_flat_workgroup_size: 129
    .name:           _Z21sort_key_value_kernelILj129ELj2ELb0ELb1EN10test_utils16custom_test_typeIfEEiEvPT3_PT4_jj
    .private_segment_fixed_size: 0
    .sgpr_count:     49
    .sgpr_spill_count: 0
    .symbol:         _Z21sort_key_value_kernelILj129ELj2ELb0ELb1EN10test_utils16custom_test_typeIfEEiEvPT3_PT4_jj.kd
    .uniform_work_group_size: 1
    .uses_dynamic_stack: false
    .vgpr_count:     46
    .vgpr_spill_count: 0
    .wavefront_size: 64
  - .agpr_count:     0
    .args:
      - .address_space:  global
        .offset:         0
        .size:           8
        .value_kind:     global_buffer
      - .address_space:  global
        .offset:         8
        .size:           8
        .value_kind:     global_buffer
      - .offset:         16
        .size:           4
        .value_kind:     by_value
      - .offset:         20
        .size:           4
        .value_kind:     by_value
      - .offset:         24
        .size:           4
        .value_kind:     hidden_block_count_x
      - .offset:         28
        .size:           4
        .value_kind:     hidden_block_count_y
      - .offset:         32
        .size:           4
        .value_kind:     hidden_block_count_z
      - .offset:         36
        .size:           2
        .value_kind:     hidden_group_size_x
      - .offset:         38
        .size:           2
        .value_kind:     hidden_group_size_y
      - .offset:         40
        .size:           2
        .value_kind:     hidden_group_size_z
      - .offset:         42
        .size:           2
        .value_kind:     hidden_remainder_x
      - .offset:         44
        .size:           2
        .value_kind:     hidden_remainder_y
      - .offset:         46
        .size:           2
        .value_kind:     hidden_remainder_z
      - .offset:         64
        .size:           8
        .value_kind:     hidden_global_offset_x
      - .offset:         72
        .size:           8
        .value_kind:     hidden_global_offset_y
      - .offset:         80
        .size:           8
        .value_kind:     hidden_global_offset_z
      - .offset:         88
        .size:           2
        .value_kind:     hidden_grid_dims
    .group_segment_fixed_size: 2064
    .kernarg_segment_align: 8
    .kernarg_segment_size: 280
    .language:       OpenCL C
    .language_version:
      - 2
      - 0
    .max_flat_workgroup_size: 128
    .name:           _Z21sort_key_value_kernelILj128ELj4ELb0ELb0EN10test_utils16custom_test_typeIsEEiEvPT3_PT4_jj
    .private_segment_fixed_size: 0
    .sgpr_count:     61
    .sgpr_spill_count: 0
    .symbol:         _Z21sort_key_value_kernelILj128ELj4ELb0ELb0EN10test_utils16custom_test_typeIsEEiEvPT3_PT4_jj.kd
    .uniform_work_group_size: 1
    .uses_dynamic_stack: false
    .vgpr_count:     69
    .vgpr_spill_count: 0
    .wavefront_size: 64
  - .agpr_count:     0
    .args:
      - .address_space:  global
        .offset:         0
        .size:           8
        .value_kind:     global_buffer
      - .address_space:  global
        .offset:         8
        .size:           8
        .value_kind:     global_buffer
      - .offset:         16
        .size:           4
        .value_kind:     by_value
      - .offset:         20
        .size:           4
        .value_kind:     by_value
    .group_segment_fixed_size: 1936
    .kernarg_segment_align: 8
    .kernarg_segment_size: 24
    .language:       OpenCL C
    .language_version:
      - 2
      - 0
    .max_flat_workgroup_size: 60
    .name:           _Z21sort_key_value_kernelILj60ELj1ELb0ELb1EtdEvPT3_PT4_jj
    .private_segment_fixed_size: 0
    .sgpr_count:     45
    .sgpr_spill_count: 0
    .symbol:         _Z21sort_key_value_kernelILj60ELj1ELb0ELb1EtdEvPT3_PT4_jj.kd
    .uniform_work_group_size: 1
    .uses_dynamic_stack: false
    .vgpr_count:     34
    .vgpr_spill_count: 0
    .wavefront_size: 64
  - .agpr_count:     0
    .args:
      - .address_space:  global
        .offset:         0
        .size:           8
        .value_kind:     global_buffer
      - .address_space:  global
        .offset:         8
        .size:           8
        .value_kind:     global_buffer
      - .offset:         16
        .size:           4
        .value_kind:     by_value
      - .offset:         20
        .size:           4
        .value_kind:     by_value
      - .offset:         24
        .size:           4
        .value_kind:     hidden_block_count_x
      - .offset:         28
        .size:           4
        .value_kind:     hidden_block_count_y
      - .offset:         32
        .size:           4
        .value_kind:     hidden_block_count_z
      - .offset:         36
        .size:           2
        .value_kind:     hidden_group_size_x
      - .offset:         38
        .size:           2
        .value_kind:     hidden_group_size_y
      - .offset:         40
        .size:           2
        .value_kind:     hidden_group_size_z
      - .offset:         42
        .size:           2
        .value_kind:     hidden_remainder_x
      - .offset:         44
        .size:           2
        .value_kind:     hidden_remainder_y
      - .offset:         46
        .size:           2
        .value_kind:     hidden_remainder_z
      - .offset:         64
        .size:           8
        .value_kind:     hidden_global_offset_x
      - .offset:         72
        .size:           8
        .value_kind:     hidden_global_offset_y
      - .offset:         80
        .size:           8
        .value_kind:     hidden_global_offset_z
      - .offset:         88
        .size:           2
        .value_kind:     hidden_grid_dims
    .group_segment_fixed_size: 8224
    .kernarg_segment_align: 8
    .kernarg_segment_size: 280
    .language:       OpenCL C
    .language_version:
      - 2
      - 0
    .max_flat_workgroup_size: 512
    .name:           _Z21sort_key_value_kernelILj512ELj2ELb1ELb0EhiEvPT3_PT4_jj
    .private_segment_fixed_size: 0
    .sgpr_count:     50
    .sgpr_spill_count: 0
    .symbol:         _Z21sort_key_value_kernelILj512ELj2ELb1ELb0EhiEvPT3_PT4_jj.kd
    .uniform_work_group_size: 1
    .uses_dynamic_stack: false
    .vgpr_count:     42
    .vgpr_spill_count: 0
    .wavefront_size: 64
  - .agpr_count:     0
    .args:
      - .address_space:  global
        .offset:         0
        .size:           8
        .value_kind:     global_buffer
      - .address_space:  global
        .offset:         8
        .size:           8
        .value_kind:     global_buffer
      - .offset:         16
        .size:           4
        .value_kind:     by_value
      - .offset:         20
        .size:           4
        .value_kind:     by_value
    .group_segment_fixed_size: 5200
    .kernarg_segment_align: 8
    .kernarg_segment_size: 24
    .language:       OpenCL C
    .language_version:
      - 2
      - 0
    .max_flat_workgroup_size: 162
    .name:           _Z21sort_key_value_kernelILj162ELj2ELb1ELb1EjsEvPT3_PT4_jj
    .private_segment_fixed_size: 0
    .sgpr_count:     42
    .sgpr_spill_count: 0
    .symbol:         _Z21sort_key_value_kernelILj162ELj2ELb1ELb1EjsEvPT3_PT4_jj.kd
    .uniform_work_group_size: 1
    .uses_dynamic_stack: false
    .vgpr_count:     34
    .vgpr_spill_count: 0
    .wavefront_size: 64
  - .agpr_count:     0
    .args:
      - .address_space:  global
        .offset:         0
        .size:           8
        .value_kind:     global_buffer
      - .address_space:  global
        .offset:         8
        .size:           8
        .value_kind:     global_buffer
      - .offset:         16
        .size:           4
        .value_kind:     by_value
      - .offset:         20
        .size:           4
        .value_kind:     by_value
    .group_segment_fixed_size: 3280
    .kernarg_segment_align: 8
    .kernarg_segment_size: 24
    .language:       OpenCL C
    .language_version:
      - 2
      - 0
    .max_flat_workgroup_size: 102
    .name:           _Z21sort_key_value_kernelILj102ELj3ELb0ELb1EtiEvPT3_PT4_jj
    .private_segment_fixed_size: 0
    .sgpr_count:     51
    .sgpr_spill_count: 0
    .symbol:         _Z21sort_key_value_kernelILj102ELj3ELb0ELb1EtiEvPT3_PT4_jj.kd
    .uniform_work_group_size: 1
    .uses_dynamic_stack: false
    .vgpr_count:     49
    .vgpr_spill_count: 0
    .wavefront_size: 64
  - .agpr_count:     0
    .args:
      - .address_space:  global
        .offset:         0
        .size:           8
        .value_kind:     global_buffer
      - .address_space:  global
        .offset:         8
        .size:           8
        .value_kind:     global_buffer
      - .offset:         16
        .size:           4
        .value_kind:     by_value
      - .offset:         20
        .size:           4
        .value_kind:     by_value
      - .offset:         24
        .size:           4
        .value_kind:     hidden_block_count_x
      - .offset:         28
        .size:           4
        .value_kind:     hidden_block_count_y
      - .offset:         32
        .size:           4
        .value_kind:     hidden_block_count_z
      - .offset:         36
        .size:           2
        .value_kind:     hidden_group_size_x
      - .offset:         38
        .size:           2
        .value_kind:     hidden_group_size_y
      - .offset:         40
        .size:           2
        .value_kind:     hidden_group_size_z
      - .offset:         42
        .size:           2
        .value_kind:     hidden_remainder_x
      - .offset:         44
        .size:           2
        .value_kind:     hidden_remainder_y
      - .offset:         46
        .size:           2
        .value_kind:     hidden_remainder_z
      - .offset:         64
        .size:           8
        .value_kind:     hidden_global_offset_x
      - .offset:         72
        .size:           8
        .value_kind:     hidden_global_offset_y
      - .offset:         80
        .size:           8
        .value_kind:     hidden_global_offset_z
      - .offset:         88
        .size:           2
        .value_kind:     hidden_grid_dims
    .group_segment_fixed_size: 1040
    .kernarg_segment_align: 8
    .kernarg_segment_size: 280
    .language:       OpenCL C
    .language_version:
      - 2
      - 0
    .max_flat_workgroup_size: 64
    .name:           _Z21sort_key_value_kernelILj64ELj1ELb0ELb0EycEvPT3_PT4_jj
    .private_segment_fixed_size: 0
    .sgpr_count:     30
    .sgpr_spill_count: 0
    .symbol:         _Z21sort_key_value_kernelILj64ELj1ELb0ELb0EycEvPT3_PT4_jj.kd
    .uniform_work_group_size: 1
    .uses_dynamic_stack: false
    .vgpr_count:     24
    .vgpr_spill_count: 0
    .wavefront_size: 64
  - .agpr_count:     0
    .args:
      - .address_space:  global
        .offset:         0
        .size:           8
        .value_kind:     global_buffer
      - .address_space:  global
        .offset:         8
        .size:           8
        .value_kind:     global_buffer
      - .offset:         16
        .size:           4
        .value_kind:     by_value
      - .offset:         20
        .size:           4
        .value_kind:     by_value
    .group_segment_fixed_size: 8432
    .kernarg_segment_align: 8
    .kernarg_segment_size: 24
    .language:       OpenCL C
    .language_version:
      - 2
      - 0
    .max_flat_workgroup_size: 234
    .name:           _Z21sort_key_value_kernelILj234ELj9ELb0ELb0EsiEvPT3_PT4_jj
    .private_segment_fixed_size: 0
    .sgpr_count:     42
    .sgpr_spill_count: 0
    .symbol:         _Z21sort_key_value_kernelILj234ELj9ELb0ELb0EsiEvPT3_PT4_jj.kd
    .uniform_work_group_size: 1
    .uses_dynamic_stack: false
    .vgpr_count:     80
    .vgpr_spill_count: 0
    .wavefront_size: 64
  - .agpr_count:     0
    .args:
      - .address_space:  global
        .offset:         0
        .size:           8
        .value_kind:     global_buffer
      - .address_space:  global
        .offset:         8
        .size:           8
        .value_kind:     global_buffer
      - .offset:         16
        .size:           4
        .value_kind:     by_value
      - .offset:         20
        .size:           4
        .value_kind:     by_value
    .group_segment_fixed_size: 3216
    .kernarg_segment_align: 8
    .kernarg_segment_size: 24
    .language:       OpenCL C
    .language_version:
      - 2
      - 0
    .max_flat_workgroup_size: 100
    .name:           _Z21sort_key_value_kernelILj100ELj3ELb0ELb0EtiEvPT3_PT4_jj
    .private_segment_fixed_size: 0
    .sgpr_count:     51
    .sgpr_spill_count: 0
    .symbol:         _Z21sort_key_value_kernelILj100ELj3ELb0ELb0EtiEvPT3_PT4_jj.kd
    .uniform_work_group_size: 1
    .uses_dynamic_stack: false
    .vgpr_count:     49
    .vgpr_spill_count: 0
    .wavefront_size: 64
  - .agpr_count:     0
    .args:
      - .address_space:  global
        .offset:         0
        .size:           8
        .value_kind:     global_buffer
      - .address_space:  global
        .offset:         8
        .size:           8
        .value_kind:     global_buffer
      - .offset:         16
        .size:           4
        .value_kind:     by_value
      - .offset:         20
        .size:           4
        .value_kind:     by_value
    .group_segment_fixed_size: 14880
    .kernarg_segment_align: 8
    .kernarg_segment_size: 24
    .language:       OpenCL C
    .language_version:
      - 2
      - 0
    .max_flat_workgroup_size: 464
    .name:           _Z21sort_key_value_kernelILj464ELj2ELb1ELb1EcdEvPT3_PT4_jj
    .private_segment_fixed_size: 0
    .sgpr_count:     44
    .sgpr_spill_count: 0
    .symbol:         _Z21sort_key_value_kernelILj464ELj2ELb1ELb1EcdEvPT3_PT4_jj.kd
    .uniform_work_group_size: 1
    .uses_dynamic_stack: false
    .vgpr_count:     42
    .vgpr_spill_count: 0
    .wavefront_size: 64
  - .agpr_count:     0
    .args:
      - .address_space:  global
        .offset:         0
        .size:           8
        .value_kind:     global_buffer
      - .address_space:  global
        .offset:         8
        .size:           8
        .value_kind:     global_buffer
      - .offset:         16
        .size:           4
        .value_kind:     by_value
      - .offset:         20
        .size:           4
        .value_kind:     by_value
    .group_segment_fixed_size: 1328
    .kernarg_segment_align: 8
    .kernarg_segment_size: 24
    .language:       OpenCL C
    .language_version:
      - 2
      - 0
    .max_flat_workgroup_size: 33
    .name:           _Z21sort_key_value_kernelILj33ELj5ELb0ELb0EdiEvPT3_PT4_jj
    .private_segment_fixed_size: 0
    .sgpr_count:     47
    .sgpr_spill_count: 0
    .symbol:         _Z21sort_key_value_kernelILj33ELj5ELb0ELb0EdiEvPT3_PT4_jj.kd
    .uniform_work_group_size: 1
    .uses_dynamic_stack: false
    .vgpr_count:     73
    .vgpr_spill_count: 0
    .wavefront_size: 64
  - .agpr_count:     0
    .args:
      - .address_space:  global
        .offset:         0
        .size:           8
        .value_kind:     global_buffer
      - .address_space:  global
        .offset:         8
        .size:           8
        .value_kind:     global_buffer
      - .offset:         16
        .size:           4
        .value_kind:     by_value
      - .offset:         20
        .size:           4
        .value_kind:     by_value
      - .offset:         24
        .size:           4
        .value_kind:     hidden_block_count_x
      - .offset:         28
        .size:           4
        .value_kind:     hidden_block_count_y
      - .offset:         32
        .size:           4
        .value_kind:     hidden_block_count_z
      - .offset:         36
        .size:           2
        .value_kind:     hidden_group_size_x
      - .offset:         38
        .size:           2
        .value_kind:     hidden_group_size_y
      - .offset:         40
        .size:           2
        .value_kind:     hidden_group_size_z
      - .offset:         42
        .size:           2
        .value_kind:     hidden_remainder_x
      - .offset:         44
        .size:           2
        .value_kind:     hidden_remainder_y
      - .offset:         46
        .size:           2
        .value_kind:     hidden_remainder_z
      - .offset:         64
        .size:           8
        .value_kind:     hidden_global_offset_x
      - .offset:         72
        .size:           8
        .value_kind:     hidden_global_offset_y
      - .offset:         80
        .size:           8
        .value_kind:     hidden_global_offset_z
      - .offset:         88
        .size:           2
        .value_kind:     hidden_grid_dims
    .group_segment_fixed_size: 4112
    .kernarg_segment_align: 8
    .kernarg_segment_size: 280
    .language:       OpenCL C
    .language_version:
      - 2
      - 0
    .max_flat_workgroup_size: 256
    .name:           _Z21sort_key_value_kernelILj256ELj7ELb0ELb0EtcEvPT3_PT4_jj
    .private_segment_fixed_size: 0
    .sgpr_count:     46
    .sgpr_spill_count: 0
    .symbol:         _Z21sort_key_value_kernelILj256ELj7ELb0ELb0EtcEvPT3_PT4_jj.kd
    .uniform_work_group_size: 1
    .uses_dynamic_stack: false
    .vgpr_count:     76
    .vgpr_spill_count: 0
    .wavefront_size: 64
  - .agpr_count:     0
    .args:
      - .address_space:  global
        .offset:         0
        .size:           8
        .value_kind:     global_buffer
      - .address_space:  global
        .offset:         8
        .size:           8
        .value_kind:     global_buffer
      - .offset:         16
        .size:           4
        .value_kind:     by_value
      - .offset:         20
        .size:           4
        .value_kind:     by_value
      - .offset:         24
        .size:           4
        .value_kind:     hidden_block_count_x
      - .offset:         28
        .size:           4
        .value_kind:     hidden_block_count_y
      - .offset:         32
        .size:           4
        .value_kind:     hidden_block_count_z
      - .offset:         36
        .size:           2
        .value_kind:     hidden_group_size_x
      - .offset:         38
        .size:           2
        .value_kind:     hidden_group_size_y
      - .offset:         40
        .size:           2
        .value_kind:     hidden_group_size_z
      - .offset:         42
        .size:           2
        .value_kind:     hidden_remainder_x
      - .offset:         44
        .size:           2
        .value_kind:     hidden_remainder_y
      - .offset:         46
        .size:           2
        .value_kind:     hidden_remainder_z
      - .offset:         64
        .size:           8
        .value_kind:     hidden_global_offset_x
      - .offset:         72
        .size:           8
        .value_kind:     hidden_global_offset_y
      - .offset:         80
        .size:           8
        .value_kind:     hidden_global_offset_z
      - .offset:         88
        .size:           2
        .value_kind:     hidden_grid_dims
    .group_segment_fixed_size: 2064
    .kernarg_segment_align: 8
    .kernarg_segment_size: 280
    .language:       OpenCL C
    .language_version:
      - 2
      - 0
    .max_flat_workgroup_size: 128
    .name:           _Z21sort_key_value_kernelILj128ELj4ELb0ELb0EisEvPT3_PT4_jj
    .private_segment_fixed_size: 0
    .sgpr_count:     54
    .sgpr_spill_count: 0
    .symbol:         _Z21sort_key_value_kernelILj128ELj4ELb0ELb0EisEvPT3_PT4_jj.kd
    .uniform_work_group_size: 1
    .uses_dynamic_stack: false
    .vgpr_count:     60
    .vgpr_spill_count: 0
    .wavefront_size: 64
  - .agpr_count:     0
    .args:
      - .address_space:  global
        .offset:         0
        .size:           8
        .value_kind:     global_buffer
      - .address_space:  global
        .offset:         8
        .size:           8
        .value_kind:     global_buffer
      - .offset:         16
        .size:           4
        .value_kind:     by_value
      - .offset:         20
        .size:           4
        .value_kind:     by_value
      - .offset:         24
        .size:           4
        .value_kind:     hidden_block_count_x
      - .offset:         28
        .size:           4
        .value_kind:     hidden_block_count_y
      - .offset:         32
        .size:           4
        .value_kind:     hidden_block_count_z
      - .offset:         36
        .size:           2
        .value_kind:     hidden_group_size_x
      - .offset:         38
        .size:           2
        .value_kind:     hidden_group_size_y
      - .offset:         40
        .size:           2
        .value_kind:     hidden_group_size_z
      - .offset:         42
        .size:           2
        .value_kind:     hidden_remainder_x
      - .offset:         44
        .size:           2
        .value_kind:     hidden_remainder_y
      - .offset:         46
        .size:           2
        .value_kind:     hidden_remainder_z
      - .offset:         64
        .size:           8
        .value_kind:     hidden_global_offset_x
      - .offset:         72
        .size:           8
        .value_kind:     hidden_global_offset_y
      - .offset:         80
        .size:           8
        .value_kind:     hidden_global_offset_z
      - .offset:         88
        .size:           2
        .value_kind:     hidden_grid_dims
    .group_segment_fixed_size: 1040
    .kernarg_segment_align: 8
    .kernarg_segment_size: 280
    .language:       OpenCL C
    .language_version:
      - 2
      - 0
    .max_flat_workgroup_size: 64
    .name:           _Z21sort_key_value_kernelILj64ELj2ELb0ELb1EfcEvPT3_PT4_jj
    .private_segment_fixed_size: 0
    .sgpr_count:     36
    .sgpr_spill_count: 0
    .symbol:         _Z21sort_key_value_kernelILj64ELj2ELb0ELb1EfcEvPT3_PT4_jj.kd
    .uniform_work_group_size: 1
    .uses_dynamic_stack: false
    .vgpr_count:     39
    .vgpr_spill_count: 0
    .wavefront_size: 64
  - .agpr_count:     0
    .args:
      - .address_space:  global
        .offset:         0
        .size:           8
        .value_kind:     global_buffer
      - .address_space:  global
        .offset:         8
        .size:           8
        .value_kind:     global_buffer
      - .offset:         16
        .size:           4
        .value_kind:     by_value
      - .offset:         20
        .size:           4
        .value_kind:     by_value
    .group_segment_fixed_size: 8176
    .kernarg_segment_align: 8
    .kernarg_segment_size: 24
    .language:       OpenCL C
    .language_version:
      - 2
      - 0
    .max_flat_workgroup_size: 255
    .name:           _Z21sort_key_value_kernelILj255ELj1ELb0ELb0EhfEvPT3_PT4_jj
    .private_segment_fixed_size: 0
    .sgpr_count:     42
    .sgpr_spill_count: 0
    .symbol:         _Z21sort_key_value_kernelILj255ELj1ELb0ELb0EhfEvPT3_PT4_jj.kd
    .uniform_work_group_size: 1
    .uses_dynamic_stack: false
    .vgpr_count:     32
    .vgpr_spill_count: 0
    .wavefront_size: 64
  - .agpr_count:     0
    .args:
      - .address_space:  global
        .offset:         0
        .size:           8
        .value_kind:     global_buffer
      - .address_space:  global
        .offset:         8
        .size:           8
        .value_kind:     global_buffer
      - .offset:         16
        .size:           4
        .value_kind:     by_value
      - .offset:         20
        .size:           4
        .value_kind:     by_value
    .group_segment_fixed_size: 5200
    .kernarg_segment_align: 8
    .kernarg_segment_size: 24
    .language:       OpenCL C
    .language_version:
      - 2
      - 0
    .max_flat_workgroup_size: 162
    .name:           _Z21sort_key_value_kernelILj162ELj1ELb1ELb0EjxEvPT3_PT4_jj
    .private_segment_fixed_size: 0
    .sgpr_count:     42
    .sgpr_spill_count: 0
    .symbol:         _Z21sort_key_value_kernelILj162ELj1ELb1ELb0EjxEvPT3_PT4_jj.kd
    .uniform_work_group_size: 1
    .uses_dynamic_stack: false
    .vgpr_count:     32
    .vgpr_spill_count: 0
    .wavefront_size: 64
  - .agpr_count:     0
    .args:
      - .address_space:  global
        .offset:         0
        .size:           8
        .value_kind:     global_buffer
      - .address_space:  global
        .offset:         8
        .size:           8
        .value_kind:     global_buffer
      - .offset:         16
        .size:           4
        .value_kind:     by_value
      - .offset:         20
        .size:           4
        .value_kind:     by_value
    .group_segment_fixed_size: 16352
    .kernarg_segment_align: 8
    .kernarg_segment_size: 24
    .language:       OpenCL C
    .language_version:
      - 2
      - 0
    .max_flat_workgroup_size: 510
    .name:           _Z21sort_key_value_kernelILj510ELj1ELb0ELb1ExcEvPT3_PT4_jj
    .private_segment_fixed_size: 0
    .sgpr_count:     44
    .sgpr_spill_count: 0
    .symbol:         _Z21sort_key_value_kernelILj510ELj1ELb0ELb1ExcEvPT3_PT4_jj.kd
    .uniform_work_group_size: 1
    .uses_dynamic_stack: false
    .vgpr_count:     32
    .vgpr_spill_count: 0
    .wavefront_size: 64
  - .agpr_count:     0
    .args:
      - .address_space:  global
        .offset:         0
        .size:           8
        .value_kind:     global_buffer
      - .address_space:  global
        .offset:         8
        .size:           8
        .value_kind:     global_buffer
      - .offset:         16
        .size:           4
        .value_kind:     by_value
      - .offset:         20
        .size:           4
        .value_kind:     by_value
    .group_segment_fixed_size: 1200
    .kernarg_segment_align: 8
    .kernarg_segment_size: 24
    .language:       OpenCL C
    .language_version:
      - 2
      - 0
    .max_flat_workgroup_size: 37
    .name:           _Z21sort_key_value_kernelILj37ELj1ELb0ELb0E6__halfiEvPT3_PT4_jj
    .private_segment_fixed_size: 0
    .sgpr_count:     46
    .sgpr_spill_count: 0
    .symbol:         _Z21sort_key_value_kernelILj37ELj1ELb0ELb0E6__halfiEvPT3_PT4_jj.kd
    .uniform_work_group_size: 1
    .uses_dynamic_stack: false
    .vgpr_count:     34
    .vgpr_spill_count: 0
    .wavefront_size: 64
  - .agpr_count:     0
    .args:
      - .address_space:  global
        .offset:         0
        .size:           8
        .value_kind:     global_buffer
      - .address_space:  global
        .offset:         8
        .size:           8
        .value_kind:     global_buffer
      - .offset:         16
        .size:           4
        .value_kind:     by_value
      - .offset:         20
        .size:           4
        .value_kind:     by_value
    .group_segment_fixed_size: 1200
    .kernarg_segment_align: 8
    .kernarg_segment_size: 24
    .language:       OpenCL C
    .language_version:
      - 2
      - 0
    .max_flat_workgroup_size: 37
    .name:           _Z21sort_key_value_kernelILj37ELj1ELb0ELb0E12hip_bfloat16iEvPT3_PT4_jj
    .private_segment_fixed_size: 0
    .sgpr_count:     46
    .sgpr_spill_count: 0
    .symbol:         _Z21sort_key_value_kernelILj37ELj1ELb0ELb0E12hip_bfloat16iEvPT3_PT4_jj.kd
    .uniform_work_group_size: 1
    .uses_dynamic_stack: false
    .vgpr_count:     34
    .vgpr_spill_count: 0
    .wavefront_size: 64
  - .agpr_count:     0
    .args:
      - .address_space:  global
        .offset:         0
        .size:           8
        .value_kind:     global_buffer
      - .address_space:  global
        .offset:         8
        .size:           8
        .value_kind:     global_buffer
      - .offset:         16
        .size:           4
        .value_kind:     by_value
      - .offset:         20
        .size:           4
        .value_kind:     by_value
    .group_segment_fixed_size: 1200
    .kernarg_segment_align: 8
    .kernarg_segment_size: 24
    .language:       OpenCL C
    .language_version:
      - 2
      - 0
    .max_flat_workgroup_size: 37
    .name:           _Z21sort_key_value_kernelILj37ELj1ELb0ELb0EfiEvPT3_PT4_jj
    .private_segment_fixed_size: 0
    .sgpr_count:     46
    .sgpr_spill_count: 0
    .symbol:         _Z21sort_key_value_kernelILj37ELj1ELb0ELb0EfiEvPT3_PT4_jj.kd
    .uniform_work_group_size: 1
    .uses_dynamic_stack: false
    .vgpr_count:     34
    .vgpr_spill_count: 0
    .wavefront_size: 64
  - .agpr_count:     0
    .args:
      - .address_space:  global
        .offset:         0
        .size:           8
        .value_kind:     global_buffer
      - .address_space:  global
        .offset:         8
        .size:           8
        .value_kind:     global_buffer
      - .offset:         16
        .size:           4
        .value_kind:     by_value
      - .offset:         20
        .size:           4
        .value_kind:     by_value
    .group_segment_fixed_size: 2096
    .kernarg_segment_align: 8
    .kernarg_segment_size: 24
    .language:       OpenCL C
    .language_version:
      - 2
      - 0
    .max_flat_workgroup_size: 65
    .name:           _Z21sort_key_value_kernelILj65ELj1ELb0ELb0EdjEvPT3_PT4_jj
    .private_segment_fixed_size: 0
    .sgpr_count:     53
    .sgpr_spill_count: 0
    .symbol:         _Z21sort_key_value_kernelILj65ELj1ELb0ELb0EdjEvPT3_PT4_jj.kd
    .uniform_work_group_size: 1
    .uses_dynamic_stack: false
    .vgpr_count:     38
    .vgpr_spill_count: 0
    .wavefront_size: 64
  - .agpr_count:     0
    .args:
      - .address_space:  global
        .offset:         0
        .size:           8
        .value_kind:     global_buffer
      - .address_space:  global
        .offset:         8
        .size:           8
        .value_kind:     global_buffer
      - .offset:         16
        .size:           4
        .value_kind:     by_value
      - .offset:         20
        .size:           4
        .value_kind:     by_value
      - .offset:         24
        .size:           4
        .value_kind:     hidden_block_count_x
      - .offset:         28
        .size:           4
        .value_kind:     hidden_block_count_y
      - .offset:         32
        .size:           4
        .value_kind:     hidden_block_count_z
      - .offset:         36
        .size:           2
        .value_kind:     hidden_group_size_x
      - .offset:         38
        .size:           2
        .value_kind:     hidden_group_size_y
      - .offset:         40
        .size:           2
        .value_kind:     hidden_group_size_z
      - .offset:         42
        .size:           2
        .value_kind:     hidden_remainder_x
      - .offset:         44
        .size:           2
        .value_kind:     hidden_remainder_y
      - .offset:         46
        .size:           2
        .value_kind:     hidden_remainder_z
      - .offset:         64
        .size:           8
        .value_kind:     hidden_global_offset_x
      - .offset:         72
        .size:           8
        .value_kind:     hidden_global_offset_y
      - .offset:         80
        .size:           8
        .value_kind:     hidden_global_offset_z
      - .offset:         88
        .size:           2
        .value_kind:     hidden_grid_dims
    .group_segment_fixed_size: 16448
    .kernarg_segment_align: 8
    .kernarg_segment_size: 280
    .language:       OpenCL C
    .language_version:
      - 2
      - 0
    .max_flat_workgroup_size: 1024
    .name:           _Z21sort_key_value_kernelILj1024ELj1ELb0ELb1EtcEvPT3_PT4_jj
    .private_segment_fixed_size: 0
    .sgpr_count:     40
    .sgpr_spill_count: 0
    .symbol:         _Z21sort_key_value_kernelILj1024ELj1ELb0ELb1EtcEvPT3_PT4_jj.kd
    .uniform_work_group_size: 1
    .uses_dynamic_stack: false
    .vgpr_count:     30
    .vgpr_spill_count: 0
    .wavefront_size: 64
  - .agpr_count:     0
    .args:
      - .address_space:  global
        .offset:         0
        .size:           8
        .value_kind:     global_buffer
      - .address_space:  global
        .offset:         8
        .size:           8
        .value_kind:     global_buffer
      - .offset:         16
        .size:           4
        .value_kind:     by_value
      - .offset:         20
        .size:           4
        .value_kind:     by_value
      - .offset:         24
        .size:           4
        .value_kind:     hidden_block_count_x
      - .offset:         28
        .size:           4
        .value_kind:     hidden_block_count_y
      - .offset:         32
        .size:           4
        .value_kind:     hidden_block_count_z
      - .offset:         36
        .size:           2
        .value_kind:     hidden_group_size_x
      - .offset:         38
        .size:           2
        .value_kind:     hidden_group_size_y
      - .offset:         40
        .size:           2
        .value_kind:     hidden_group_size_z
      - .offset:         42
        .size:           2
        .value_kind:     hidden_remainder_x
      - .offset:         44
        .size:           2
        .value_kind:     hidden_remainder_y
      - .offset:         46
        .size:           2
        .value_kind:     hidden_remainder_z
      - .offset:         64
        .size:           8
        .value_kind:     hidden_global_offset_x
      - .offset:         72
        .size:           8
        .value_kind:     hidden_global_offset_y
      - .offset:         80
        .size:           8
        .value_kind:     hidden_global_offset_z
      - .offset:         88
        .size:           2
        .value_kind:     hidden_grid_dims
    .group_segment_fixed_size: 4112
    .kernarg_segment_align: 8
    .kernarg_segment_size: 280
    .language:       OpenCL C
    .language_version:
      - 2
      - 0
    .max_flat_workgroup_size: 256
    .name:           _Z21sort_key_value_kernelILj256ELj1ELb0ELb0EjiEvPT3_PT4_jj
    .private_segment_fixed_size: 0
    .sgpr_count:     42
    .sgpr_spill_count: 0
    .symbol:         _Z21sort_key_value_kernelILj256ELj1ELb0ELb0EjiEvPT3_PT4_jj.kd
    .uniform_work_group_size: 1
    .uses_dynamic_stack: false
    .vgpr_count:     28
    .vgpr_spill_count: 0
    .wavefront_size: 64
  - .agpr_count:     0
    .args:
      - .address_space:  global
        .offset:         0
        .size:           8
        .value_kind:     global_buffer
      - .address_space:  global
        .offset:         8
        .size:           8
        .value_kind:     global_buffer
      - .offset:         16
        .size:           4
        .value_kind:     by_value
      - .offset:         20
        .size:           4
        .value_kind:     by_value
      - .offset:         24
        .size:           4
        .value_kind:     hidden_block_count_x
      - .offset:         28
        .size:           4
        .value_kind:     hidden_block_count_y
      - .offset:         32
        .size:           4
        .value_kind:     hidden_block_count_z
      - .offset:         36
        .size:           2
        .value_kind:     hidden_group_size_x
      - .offset:         38
        .size:           2
        .value_kind:     hidden_group_size_y
      - .offset:         40
        .size:           2
        .value_kind:     hidden_group_size_z
      - .offset:         42
        .size:           2
        .value_kind:     hidden_remainder_x
      - .offset:         44
        .size:           2
        .value_kind:     hidden_remainder_y
      - .offset:         46
        .size:           2
        .value_kind:     hidden_remainder_z
      - .offset:         64
        .size:           8
        .value_kind:     hidden_global_offset_x
      - .offset:         72
        .size:           8
        .value_kind:     hidden_global_offset_y
      - .offset:         80
        .size:           8
        .value_kind:     hidden_global_offset_z
      - .offset:         88
        .size:           2
        .value_kind:     hidden_grid_dims
    .group_segment_fixed_size: 2064
    .kernarg_segment_align: 8
    .kernarg_segment_size: 280
    .language:       OpenCL C
    .language_version:
      - 2
      - 0
    .max_flat_workgroup_size: 128
    .name:           _Z21sort_key_value_kernelILj128ELj1ELb0ELb0EiiEvPT3_PT4_jj
    .private_segment_fixed_size: 0
    .sgpr_count:     42
    .sgpr_spill_count: 0
    .symbol:         _Z21sort_key_value_kernelILj128ELj1ELb0ELb0EiiEvPT3_PT4_jj.kd
    .uniform_work_group_size: 1
    .uses_dynamic_stack: false
    .vgpr_count:     28
    .vgpr_spill_count: 0
    .wavefront_size: 64
  - .agpr_count:     0
    .args:
      - .address_space:  global
        .offset:         0
        .size:           8
        .value_kind:     global_buffer
      - .address_space:  global
        .offset:         8
        .size:           8
        .value_kind:     global_buffer
      - .offset:         16
        .size:           4
        .value_kind:     by_value
      - .offset:         20
        .size:           4
        .value_kind:     by_value
      - .offset:         24
        .size:           4
        .value_kind:     hidden_block_count_x
      - .offset:         28
        .size:           4
        .value_kind:     hidden_block_count_y
      - .offset:         32
        .size:           4
        .value_kind:     hidden_block_count_z
      - .offset:         36
        .size:           2
        .value_kind:     hidden_group_size_x
      - .offset:         38
        .size:           2
        .value_kind:     hidden_group_size_y
      - .offset:         40
        .size:           2
        .value_kind:     hidden_group_size_z
      - .offset:         42
        .size:           2
        .value_kind:     hidden_remainder_x
      - .offset:         44
        .size:           2
        .value_kind:     hidden_remainder_y
      - .offset:         46
        .size:           2
        .value_kind:     hidden_remainder_z
      - .offset:         64
        .size:           8
        .value_kind:     hidden_global_offset_x
      - .offset:         72
        .size:           8
        .value_kind:     hidden_global_offset_y
      - .offset:         80
        .size:           8
        .value_kind:     hidden_global_offset_z
      - .offset:         88
        .size:           2
        .value_kind:     hidden_grid_dims
    .group_segment_fixed_size: 1040
    .kernarg_segment_align: 8
    .kernarg_segment_size: 280
    .language:       OpenCL C
    .language_version:
      - 2
      - 0
    .max_flat_workgroup_size: 64
    .name:           _Z21sort_key_value_kernelILj64ELj1ELb0ELb0EjiEvPT3_PT4_jj
    .private_segment_fixed_size: 0
    .sgpr_count:     30
    .sgpr_spill_count: 0
    .symbol:         _Z21sort_key_value_kernelILj64ELj1ELb0ELb0EjiEvPT3_PT4_jj.kd
    .uniform_work_group_size: 1
    .uses_dynamic_stack: false
    .vgpr_count:     21
    .vgpr_spill_count: 0
    .wavefront_size: 64
  - .agpr_count:     0
    .args:
      - .address_space:  global
        .offset:         0
        .size:           8
        .value_kind:     global_buffer
      - .address_space:  global
        .offset:         8
        .size:           8
        .value_kind:     global_buffer
      - .offset:         16
        .size:           4
        .value_kind:     by_value
      - .offset:         20
        .size:           4
        .value_kind:     by_value
      - .offset:         24
        .size:           4
        .value_kind:     hidden_block_count_x
      - .offset:         28
        .size:           4
        .value_kind:     hidden_block_count_y
      - .offset:         32
        .size:           4
        .value_kind:     hidden_block_count_z
      - .offset:         36
        .size:           2
        .value_kind:     hidden_group_size_x
      - .offset:         38
        .size:           2
        .value_kind:     hidden_group_size_y
      - .offset:         40
        .size:           2
        .value_kind:     hidden_group_size_z
      - .offset:         42
        .size:           2
        .value_kind:     hidden_remainder_x
      - .offset:         44
        .size:           2
        .value_kind:     hidden_remainder_y
      - .offset:         46
        .size:           2
        .value_kind:     hidden_remainder_z
      - .offset:         64
        .size:           8
        .value_kind:     hidden_global_offset_x
      - .offset:         72
        .size:           8
        .value_kind:     hidden_global_offset_y
      - .offset:         80
        .size:           8
        .value_kind:     hidden_global_offset_z
      - .offset:         88
        .size:           2
        .value_kind:     hidden_grid_dims
    .group_segment_fixed_size: 1040
    .kernarg_segment_align: 8
    .kernarg_segment_size: 280
    .language:       OpenCL C
    .language_version:
      - 2
      - 0
    .max_flat_workgroup_size: 64
    .name:           _Z21sort_key_value_kernelILj64ELj1ELb0ELb0EooEvPT3_PT4_jj
    .private_segment_fixed_size: 0
    .sgpr_count:     30
    .sgpr_spill_count: 0
    .symbol:         _Z21sort_key_value_kernelILj64ELj1ELb0ELb0EooEvPT3_PT4_jj.kd
    .uniform_work_group_size: 1
    .uses_dynamic_stack: false
    .vgpr_count:     34
    .vgpr_spill_count: 0
    .wavefront_size: 64
  - .agpr_count:     0
    .args:
      - .address_space:  global
        .offset:         0
        .size:           8
        .value_kind:     global_buffer
      - .address_space:  global
        .offset:         8
        .size:           8
        .value_kind:     global_buffer
      - .offset:         16
        .size:           4
        .value_kind:     by_value
      - .offset:         20
        .size:           4
        .value_kind:     by_value
      - .offset:         24
        .size:           4
        .value_kind:     hidden_block_count_x
      - .offset:         28
        .size:           4
        .value_kind:     hidden_block_count_y
      - .offset:         32
        .size:           4
        .value_kind:     hidden_block_count_z
      - .offset:         36
        .size:           2
        .value_kind:     hidden_group_size_x
      - .offset:         38
        .size:           2
        .value_kind:     hidden_group_size_y
      - .offset:         40
        .size:           2
        .value_kind:     hidden_group_size_z
      - .offset:         42
        .size:           2
        .value_kind:     hidden_remainder_x
      - .offset:         44
        .size:           2
        .value_kind:     hidden_remainder_y
      - .offset:         46
        .size:           2
        .value_kind:     hidden_remainder_z
      - .offset:         64
        .size:           8
        .value_kind:     hidden_global_offset_x
      - .offset:         72
        .size:           8
        .value_kind:     hidden_global_offset_y
      - .offset:         80
        .size:           8
        .value_kind:     hidden_global_offset_z
      - .offset:         88
        .size:           2
        .value_kind:     hidden_grid_dims
    .group_segment_fixed_size: 1040
    .kernarg_segment_align: 8
    .kernarg_segment_size: 280
    .language:       OpenCL C
    .language_version:
      - 2
      - 0
    .max_flat_workgroup_size: 64
    .name:           _Z21sort_key_value_kernelILj64ELj1ELb0ELb0EnnEvPT3_PT4_jj
    .private_segment_fixed_size: 0
    .sgpr_count:     33
    .sgpr_spill_count: 0
    .symbol:         _Z21sort_key_value_kernelILj64ELj1ELb0ELb0EnnEvPT3_PT4_jj.kd
    .uniform_work_group_size: 1
    .uses_dynamic_stack: false
    .vgpr_count:     34
    .vgpr_spill_count: 0
    .wavefront_size: 64
amdhsa.target:   amdgcn-amd-amdhsa--gfx90a
amdhsa.version:
  - 1
  - 2
...

	.end_amdgpu_metadata
